;; amdgpu-corpus repo=zjin-lcf/HeCBench kind=compiled arch=gfx1100 opt=O3
	.text
	.amdgcn_target "amdgcn-amd-amdhsa--gfx1100"
	.amdhsa_code_object_version 6
	.protected	_Z19kernel_gpupcg_setupPmS_imm ; -- Begin function _Z19kernel_gpupcg_setupPmS_imm
	.globl	_Z19kernel_gpupcg_setupPmS_imm
	.p2align	8
	.type	_Z19kernel_gpupcg_setupPmS_imm,@function
_Z19kernel_gpupcg_setupPmS_imm:         ; @_Z19kernel_gpupcg_setupPmS_imm
; %bb.0:
	s_clause 0x1
	s_load_b32 s2, s[0:1], 0x34
	s_load_b32 s3, s[0:1], 0x10
	s_waitcnt lgkmcnt(0)
	s_and_b32 s2, s2, 0xffff
	s_delay_alu instid0(SALU_CYCLE_1) | instskip(SKIP_1) | instid1(VALU_DEP_1)
	v_mad_u64_u32 v[1:2], null, s15, s2, v[0:1]
	s_mov_b32 s2, exec_lo
	v_cmpx_gt_i32_e64 s3, v1
	s_cbranch_execz .LBB0_2
; %bb.1:
	s_load_b128 s[4:7], s[0:1], 0x18
	v_ashrrev_i32_e32 v2, 31, v1
	s_delay_alu instid0(VALU_DEP_1)
	v_lshlrev_b64 v[5:6], 3, v[1:2]
	s_waitcnt lgkmcnt(0)
	s_mul_i32 s2, s6, 0xc6a4a793
	s_mul_hi_u32 s3, s6, 0x5bd1e995
	s_mul_i32 s7, s7, 0x5bd1e995
	s_add_i32 s2, s3, s2
	s_mul_i32 s6, s6, 0x5bd1e995
	s_add_i32 s7, s2, s7
	s_load_b128 s[0:3], s[0:1], 0x0
	s_lshr_b32 s8, s7, 15
	s_mul_i32 s7, s7, 0x5bd1e995
	s_xor_b32 s6, s8, s6
	s_delay_alu instid0(SALU_CYCLE_1)
	s_mul_i32 s8, s6, 0xc6a4a793
	s_mul_hi_u32 s9, s6, 0x5bd1e995
	s_mul_i32 s6, s6, 0x5bd1e995
	s_add_i32 s8, s9, s8
	s_xor_b32 s6, s6, 0xde8f4c87
	s_add_i32 s8, s8, s7
	s_mul_i32 s7, s6, 0xc6a4a793
	s_mul_hi_u32 s9, s6, 0x5bd1e995
	s_xor_b32 s8, s8, 0x35253c9a
	s_add_i32 s7, s9, s7
	s_mul_i32 s8, s8, 0x5bd1e995
	s_mul_i32 s6, s6, 0x5bd1e995
	s_add_i32 s8, s7, s8
	s_mov_b32 s7, 0
	s_lshr_b32 s9, s8, 15
	s_mul_i32 s8, s8, 0x5bd1e995
	s_xor_b32 s6, s9, s6
	s_waitcnt lgkmcnt(0)
	v_add_co_u32 v7, vcc_lo, s0, v5
	s_mul_i32 s9, s6, 0xc6a4a793
	s_mul_hi_u32 s10, s6, 0x5bd1e995
	v_add_co_ci_u32_e32 v8, vcc_lo, s1, v6, vcc_lo
	s_add_i32 s9, s10, s9
	v_add_co_u32 v5, vcc_lo, s2, v5
	s_add_i32 s9, s9, s8
	s_mul_i32 s8, s6, 0x5bd1e995
	s_lshr_b32 s6, s9, 15
	v_add_co_ci_u32_e32 v6, vcc_lo, s3, v6, vcc_lo
	s_xor_b64 s[6:7], s[6:7], s[8:9]
	s_delay_alu instid0(SALU_CYCLE_1) | instskip(NEXT) | instid1(SALU_CYCLE_1)
	s_lshl_b64 s[6:7], s[6:7], 1
	s_or_b32 s6, s6, 1
	v_dual_mov_b32 v3, 0 :: v_dual_mov_b32 v10, s7
	s_delay_alu instid0(VALU_DEP_1)
	v_dual_mov_b32 v9, s6 :: v_dual_mov_b32 v4, v3
	global_store_b64 v[7:8], v[3:4], off
	global_store_b64 v[5:6], v[9:10], off
	global_load_b64 v[3:4], v[7:8], off
	v_add_co_u32 v9, vcc_lo, v1, s4
	v_add_co_ci_u32_e32 v0, vcc_lo, s5, v2, vcc_lo
	s_delay_alu instid0(VALU_DEP_2) | instskip(NEXT) | instid1(VALU_DEP_2)
	v_mul_lo_u32 v10, 0xc6a4a793, v9
	v_mul_lo_u32 v2, 0x5bd1e995, v0
	v_mad_u64_u32 v[0:1], null, 0x5bd1e995, v9, 0
	s_delay_alu instid0(VALU_DEP_1) | instskip(NEXT) | instid1(VALU_DEP_1)
	v_add3_u32 v1, v1, v10, v2
	v_lshrrev_b32_e32 v2, 15, v1
	v_mul_lo_u32 v9, 0x5bd1e995, v1
	s_delay_alu instid0(VALU_DEP_2) | instskip(NEXT) | instid1(VALU_DEP_1)
	v_xor_b32_e32 v2, v2, v0
	v_mul_lo_u32 v10, 0xc6a4a793, v2
	v_mad_u64_u32 v[0:1], null, 0x5bd1e995, v2, 0
	s_delay_alu instid0(VALU_DEP_1) | instskip(NEXT) | instid1(VALU_DEP_2)
	v_add3_u32 v1, v1, v10, v9
	v_xor_b32_e32 v2, 0xde8f4cb9, v0
	s_delay_alu instid0(VALU_DEP_2) | instskip(NEXT) | instid1(VALU_DEP_2)
	v_xor_b32_e32 v9, 0x35253c9a, v1
	v_mul_lo_u32 v10, 0xc6a4a793, v2
	v_mad_u64_u32 v[0:1], null, 0x5bd1e995, v2, 0
	s_delay_alu instid0(VALU_DEP_3) | instskip(NEXT) | instid1(VALU_DEP_1)
	v_mul_lo_u32 v2, 0x5bd1e995, v9
	v_add3_u32 v1, v1, v10, v2
	s_delay_alu instid0(VALU_DEP_1) | instskip(SKIP_1) | instid1(VALU_DEP_2)
	v_lshrrev_b32_e32 v2, 15, v1
	v_mul_lo_u32 v9, 0x5bd1e995, v1
	v_xor_b32_e32 v2, v2, v0
	s_delay_alu instid0(VALU_DEP_1) | instskip(SKIP_1) | instid1(VALU_DEP_1)
	v_mul_lo_u32 v10, 0xc6a4a793, v2
	v_mad_u64_u32 v[0:1], null, 0x5bd1e995, v2, 0
	v_add3_u32 v1, v1, v10, v9
	s_delay_alu instid0(VALU_DEP_1) | instskip(NEXT) | instid1(VALU_DEP_1)
	v_lshrrev_b32_e32 v2, 15, v1
	v_xor_b32_e32 v0, v2, v0
	s_delay_alu instid0(VALU_DEP_1) | instskip(SKIP_2) | instid1(VALU_DEP_1)
	v_add_co_u32 v0, vcc_lo, v0, s6
	v_add_co_ci_u32_e32 v1, vcc_lo, s7, v1, vcc_lo
	s_waitcnt vmcnt(0)
	v_mad_u64_u32 v[9:10], null, 0x4c957f2d, v3, v[0:1]
	v_mul_lo_u32 v0, 0x5851f42d, v3
	v_mul_lo_u32 v1, 0x4c957f2d, v4
	s_delay_alu instid0(VALU_DEP_3) | instskip(NEXT) | instid1(VALU_DEP_2)
	v_mul_lo_u32 v4, 0x5851f42d, v9
	v_add3_u32 v10, v1, v10, v0
	global_store_b64 v[7:8], v[9:10], off
	global_load_b64 v[0:1], v[5:6], off
	v_mul_lo_u32 v5, 0x4c957f2d, v10
	s_waitcnt vmcnt(0)
	v_mad_u64_u32 v[2:3], null, 0x4c957f2d, v9, v[0:1]
	s_delay_alu instid0(VALU_DEP_1)
	v_add3_u32 v3, v5, v3, v4
	global_store_b64 v[7:8], v[2:3], off
.LBB0_2:
	s_nop 0
	s_sendmsg sendmsg(MSG_DEALLOC_VGPRS)
	s_endpgm
	.section	.rodata,"a",@progbits
	.p2align	6, 0x0
	.amdhsa_kernel _Z19kernel_gpupcg_setupPmS_imm
		.amdhsa_group_segment_fixed_size 0
		.amdhsa_private_segment_fixed_size 0
		.amdhsa_kernarg_size 296
		.amdhsa_user_sgpr_count 15
		.amdhsa_user_sgpr_dispatch_ptr 0
		.amdhsa_user_sgpr_queue_ptr 0
		.amdhsa_user_sgpr_kernarg_segment_ptr 1
		.amdhsa_user_sgpr_dispatch_id 0
		.amdhsa_user_sgpr_private_segment_size 0
		.amdhsa_wavefront_size32 1
		.amdhsa_uses_dynamic_stack 0
		.amdhsa_enable_private_segment 0
		.amdhsa_system_sgpr_workgroup_id_x 1
		.amdhsa_system_sgpr_workgroup_id_y 0
		.amdhsa_system_sgpr_workgroup_id_z 0
		.amdhsa_system_sgpr_workgroup_info 0
		.amdhsa_system_vgpr_workitem_id 0
		.amdhsa_next_free_vgpr 11
		.amdhsa_next_free_sgpr 16
		.amdhsa_reserve_vcc 1
		.amdhsa_float_round_mode_32 0
		.amdhsa_float_round_mode_16_64 0
		.amdhsa_float_denorm_mode_32 3
		.amdhsa_float_denorm_mode_16_64 3
		.amdhsa_dx10_clamp 1
		.amdhsa_ieee_mode 1
		.amdhsa_fp16_overflow 0
		.amdhsa_workgroup_processor_mode 1
		.amdhsa_memory_ordered 1
		.amdhsa_forward_progress 0
		.amdhsa_shared_vgpr_count 0
		.amdhsa_exception_fp_ieee_invalid_op 0
		.amdhsa_exception_fp_denorm_src 0
		.amdhsa_exception_fp_ieee_div_zero 0
		.amdhsa_exception_fp_ieee_overflow 0
		.amdhsa_exception_fp_ieee_underflow 0
		.amdhsa_exception_fp_ieee_inexact 0
		.amdhsa_exception_int_div_zero 0
	.end_amdhsa_kernel
	.text
.Lfunc_end0:
	.size	_Z19kernel_gpupcg_setupPmS_imm, .Lfunc_end0-_Z19kernel_gpupcg_setupPmS_imm
                                        ; -- End function
	.section	.AMDGPU.csdata,"",@progbits
; Kernel info:
; codeLenInByte = 808
; NumSgprs: 18
; NumVgprs: 11
; ScratchSize: 0
; MemoryBound: 0
; FloatMode: 240
; IeeeMode: 1
; LDSByteSize: 0 bytes/workgroup (compile time only)
; SGPRBlocks: 2
; VGPRBlocks: 1
; NumSGPRsForWavesPerEU: 18
; NumVGPRsForWavesPerEU: 11
; Occupancy: 16
; WaveLimiterHint : 0
; COMPUTE_PGM_RSRC2:SCRATCH_EN: 0
; COMPUTE_PGM_RSRC2:USER_SGPR: 15
; COMPUTE_PGM_RSRC2:TRAP_HANDLER: 0
; COMPUTE_PGM_RSRC2:TGID_X_EN: 1
; COMPUTE_PGM_RSRC2:TGID_Y_EN: 0
; COMPUTE_PGM_RSRC2:TGID_Z_EN: 0
; COMPUTE_PGM_RSRC2:TIDIG_COMP_CNT: 0
	.text
	.protected	_Z17kernel_metropolisiiPiPKiffPmS2_i ; -- Begin function _Z17kernel_metropolisiiPiPKiffPmS2_i
	.globl	_Z17kernel_metropolisiiPiPKiffPmS2_i
	.p2align	8
	.type	_Z17kernel_metropolisiiPiPKiffPmS2_i,@function
_Z17kernel_metropolisiiPiPKiffPmS2_i:   ; @_Z17kernel_metropolisiiPiPKiffPmS2_i
; %bb.0:
	s_clause 0x1
	s_load_b32 s8, s[0:1], 0x30
	s_load_b32 s2, s[0:1], 0x4
	v_bfe_u32 v16, v0, 20, 10
	v_bfe_u32 v18, v0, 10, 10
	s_add_i32 s9, s13, s15
	s_lshl_b32 s3, s15, 2
	s_lshl_b32 s10, s14, 4
	v_add_nc_u32_e32 v1, s3, v16
	v_lshlrev_b32_e32 v17, 1, v18
	v_and_b32_e32 v15, 0x3ff, v0
	s_load_b128 s[4:7], s[0:1], 0x8
	v_mul_u32_u24_e32 v19, 0xb4, v16
	v_mul_u32_u24_e32 v23, 36, v18
	s_delay_alu instid0(VALU_DEP_3) | instskip(NEXT) | instid1(VALU_DEP_3)
	v_add_nc_u32_e32 v14, 1, v15
	v_mad_u32_u24 v12, v18, 36, v19
	s_waitcnt lgkmcnt(0)
	s_add_i32 s9, s9, s8
	v_mul_lo_u32 v6, v1, s2
	s_lshl_b32 s8, s9, 3
	v_add_nc_u32_e32 v24, 18, v12
	s_and_b32 s8, s8, 8
	v_add_nc_u32_e32 v25, 36, v12
	s_or_b32 s9, s8, s10
	s_lshl_b32 s8, s13, 4
	v_add_nc_u32_e32 v1, s9, v17
	v_mul_lo_u32 v20, v6, s2
	v_add_nc_u32_e32 v4, s8, v15
	v_add_lshl_u32 v13, v24, v14, 2
	v_add_lshl_u32 v12, v25, v14, 2
	v_or_b32_e32 v2, 1, v1
	v_mul_lo_u32 v21, v1, s2
	s_delay_alu instid0(VALU_DEP_2) | instskip(NEXT) | instid1(VALU_DEP_2)
	v_mul_lo_u32 v22, v2, s2
	v_add_nc_u32_e32 v7, v21, v20
	s_delay_alu instid0(VALU_DEP_2) | instskip(NEXT) | instid1(VALU_DEP_2)
	v_add_nc_u32_e32 v5, v22, v20
	v_add_nc_u32_e32 v0, v7, v4
	s_delay_alu instid0(VALU_DEP_2) | instskip(NEXT) | instid1(VALU_DEP_2)
	v_add_nc_u32_e32 v2, v5, v4
	v_ashrrev_i32_e32 v1, 31, v0
	s_delay_alu instid0(VALU_DEP_2) | instskip(NEXT) | instid1(VALU_DEP_2)
	v_ashrrev_i32_e32 v3, 31, v2
	v_lshlrev_b64 v[10:11], 2, v[0:1]
	s_delay_alu instid0(VALU_DEP_2) | instskip(NEXT) | instid1(VALU_DEP_2)
	v_lshlrev_b64 v[8:9], 2, v[2:3]
	v_add_co_u32 v0, vcc_lo, s4, v10
	s_delay_alu instid0(VALU_DEP_3) | instskip(NEXT) | instid1(VALU_DEP_3)
	v_add_co_ci_u32_e32 v1, vcc_lo, s5, v11, vcc_lo
	v_add_co_u32 v2, vcc_lo, s4, v8
	s_delay_alu instid0(VALU_DEP_4)
	v_add_co_ci_u32_e32 v3, vcc_lo, s5, v9, vcc_lo
	v_add_co_u32 v10, vcc_lo, s6, v10
	s_clause 0x1
	global_load_b32 v26, v[0:1], off
	global_load_b32 v27, v[2:3], off
	v_add_co_ci_u32_e32 v11, vcc_lo, s7, v11, vcc_lo
	v_add_co_u32 v8, vcc_lo, s6, v8
	v_add_co_ci_u32_e32 v9, vcc_lo, s7, v9, vcc_lo
	s_mov_b32 s6, 0
	s_mov_b32 s7, exec_lo
	s_waitcnt vmcnt(1)
	ds_store_b32 v13, v26 offset:720
	s_waitcnt vmcnt(0)
	ds_store_b32 v12, v27 offset:720
	s_clause 0x1
	global_load_b32 v10, v[10:11], off
	global_load_b32 v9, v[8:9], off
                                        ; implicit-def: $vgpr26
                                        ; implicit-def: $vgpr8
	v_cmpx_lt_i32_e32 2, v18
	s_xor_b32 s7, exec_lo, s7
	s_cbranch_execnz .LBB1_31
; %bb.1:
	s_or_saveexec_b32 s7, s7
	v_add_nc_u32_e32 v11, 0xb4, v19
	s_xor_b32 exec_lo, exec_lo, s7
	s_cbranch_execnz .LBB1_34
.LBB1_2:
	s_or_b32 exec_lo, exec_lo, s7
	s_and_saveexec_b32 s7, s6
	s_cbranch_execz .LBB1_4
.LBB1_3:
	v_add_nc_u32_e32 v26, v26, v4
	v_lshlrev_b32_e32 v8, 2, v8
	s_delay_alu instid0(VALU_DEP_2) | instskip(NEXT) | instid1(VALU_DEP_1)
	v_ashrrev_i32_e32 v27, 31, v26
	v_lshlrev_b64 v[26:27], 2, v[26:27]
	s_delay_alu instid0(VALU_DEP_1) | instskip(NEXT) | instid1(VALU_DEP_2)
	v_add_co_u32 v26, vcc_lo, s4, v26
	v_add_co_ci_u32_e32 v27, vcc_lo, s5, v27, vcc_lo
	global_load_b32 v6, v[26:27], off
	s_waitcnt vmcnt(0)
	ds_store_b32 v8, v6
.LBB1_4:
	s_or_b32 exec_lo, exec_lo, s7
	s_delay_alu instid0(SALU_CYCLE_1)
	s_mov_b32 s6, exec_lo
	v_cmpx_lt_i32_e32 14, v15
	s_xor_b32 s6, exec_lo, s6
	s_cbranch_execz .LBB1_11
; %bb.5:
	s_mov_b32 s7, exec_lo
	v_cmpx_eq_u32_e32 15, v15
	s_cbranch_execz .LBB1_10
; %bb.6:
	s_load_b32 s9, s[0:1], 0x38
	s_waitcnt lgkmcnt(0)
	s_add_i32 s9, s9, -1
	s_delay_alu instid0(SALU_CYCLE_1)
	s_cmp_lg_u32 s13, s9
	s_mov_b32 s9, -1
	s_cbranch_scc0 .LBB1_8
; %bb.7:
	v_ashrrev_i32_e32 v6, 31, v7
	s_ashr_i32 s9, s8, 31
	v_ashrrev_i32_e32 v8, 31, v5
	v_add_co_u32 v26, vcc_lo, v7, s8
	s_delay_alu instid0(VALU_DEP_3) | instskip(SKIP_1) | instid1(VALU_DEP_4)
	v_add_co_ci_u32_e32 v27, vcc_lo, s9, v6, vcc_lo
	v_add_co_u32 v28, vcc_lo, v5, s8
	v_add_co_ci_u32_e32 v29, vcc_lo, s9, v8, vcc_lo
	s_delay_alu instid0(VALU_DEP_3) | instskip(SKIP_1) | instid1(VALU_DEP_2)
	v_lshlrev_b64 v[26:27], 2, v[26:27]
	s_mov_b32 s9, 0
	v_lshlrev_b64 v[28:29], 2, v[28:29]
	s_delay_alu instid0(VALU_DEP_2) | instskip(NEXT) | instid1(VALU_DEP_3)
	v_add_co_u32 v26, vcc_lo, s4, v26
	v_add_co_ci_u32_e32 v27, vcc_lo, s5, v27, vcc_lo
	s_delay_alu instid0(VALU_DEP_3) | instskip(NEXT) | instid1(VALU_DEP_4)
	v_add_co_u32 v28, vcc_lo, s4, v28
	v_add_co_ci_u32_e32 v29, vcc_lo, s5, v29, vcc_lo
	s_clause 0x1
	global_load_b32 v6, v[26:27], off offset:64
	global_load_b32 v8, v[28:29], off offset:64
	v_lshlrev_b32_e32 v26, 2, v24
	v_lshlrev_b32_e32 v27, 2, v25
	s_waitcnt vmcnt(1)
	ds_store_b32 v26, v6 offset:788
	s_waitcnt vmcnt(0)
	ds_store_b32 v27, v8 offset:788
.LBB1_8:
	s_and_not1_b32 vcc_lo, exec_lo, s9
	s_cbranch_vccnz .LBB1_10
; %bb.9:
	v_ashrrev_i32_e32 v8, 31, v7
	v_ashrrev_i32_e32 v6, 31, v5
	s_delay_alu instid0(VALU_DEP_2) | instskip(NEXT) | instid1(VALU_DEP_2)
	v_lshlrev_b64 v[7:8], 2, v[7:8]
	v_lshlrev_b64 v[5:6], 2, v[5:6]
	s_delay_alu instid0(VALU_DEP_2) | instskip(NEXT) | instid1(VALU_DEP_3)
	v_add_co_u32 v7, vcc_lo, s4, v7
	v_add_co_ci_u32_e32 v8, vcc_lo, s5, v8, vcc_lo
	s_delay_alu instid0(VALU_DEP_3) | instskip(NEXT) | instid1(VALU_DEP_4)
	v_add_co_u32 v5, vcc_lo, s4, v5
	v_add_co_ci_u32_e32 v6, vcc_lo, s5, v6, vcc_lo
	s_clause 0x1
	global_load_b32 v7, v[7:8], off
	global_load_b32 v5, v[5:6], off
	v_lshlrev_b32_e32 v6, 2, v24
	v_lshlrev_b32_e32 v8, 2, v25
	s_waitcnt vmcnt(1)
	ds_store_b32 v6, v7 offset:788
	s_waitcnt vmcnt(0)
	ds_store_b32 v8, v5 offset:788
.LBB1_10:
	s_or_b32 exec_lo, exec_lo, s7
                                        ; implicit-def: $vgpr7
                                        ; implicit-def: $vgpr5
                                        ; implicit-def: $vgpr24
                                        ; implicit-def: $vgpr25
.LBB1_11:
	s_and_not1_saveexec_b32 s6, s6
	s_cbranch_execz .LBB1_17
; %bb.12:
	s_mov_b32 s7, exec_lo
	v_cmpx_eq_u32_e32 0, v15
	s_cbranch_execz .LBB1_16
; %bb.13:
	v_lshlrev_b32_e32 v6, 2, v24
	v_lshlrev_b32_e32 v8, 2, v25
	v_ashrrev_i32_e32 v25, 31, v7
	v_ashrrev_i32_e32 v24, 31, v5
	s_cmp_lg_u32 s13, 0
	s_cbranch_scc0 .LBB1_37
; %bb.14:
	s_ashr_i32 s9, s8, 31
	v_add_co_u32 v26, vcc_lo, v7, s8
	v_add_co_ci_u32_e32 v27, vcc_lo, s9, v25, vcc_lo
	v_add_co_u32 v28, vcc_lo, v5, s8
	v_add_co_ci_u32_e32 v29, vcc_lo, s9, v24, vcc_lo
	s_delay_alu instid0(VALU_DEP_3) | instskip(NEXT) | instid1(VALU_DEP_2)
	v_lshlrev_b64 v[26:27], 2, v[26:27]
	v_lshlrev_b64 v[28:29], 2, v[28:29]
	s_delay_alu instid0(VALU_DEP_2) | instskip(NEXT) | instid1(VALU_DEP_3)
	v_add_co_u32 v26, vcc_lo, s4, v26
	v_add_co_ci_u32_e32 v27, vcc_lo, s5, v27, vcc_lo
	s_delay_alu instid0(VALU_DEP_3) | instskip(NEXT) | instid1(VALU_DEP_4)
	v_add_co_u32 v28, vcc_lo, s4, v28
	v_add_co_ci_u32_e32 v29, vcc_lo, s5, v29, vcc_lo
	s_clause 0x1
	global_load_b32 v26, v[26:27], off offset:-4
	global_load_b32 v27, v[28:29], off offset:-4
	s_waitcnt vmcnt(1)
	ds_store_b32 v6, v26 offset:720
	s_waitcnt vmcnt(0)
	ds_store_b32 v8, v27 offset:720
	s_cbranch_execnz .LBB1_16
.LBB1_15:
	s_ashr_i32 s8, s2, 31
	v_add_co_u32 v26, vcc_lo, v7, s2
	v_add_co_ci_u32_e32 v27, vcc_lo, s8, v25, vcc_lo
	v_add_co_u32 v28, vcc_lo, v5, s2
	v_add_co_ci_u32_e32 v29, vcc_lo, s8, v24, vcc_lo
	s_delay_alu instid0(VALU_DEP_3) | instskip(NEXT) | instid1(VALU_DEP_2)
	v_lshlrev_b64 v[24:25], 2, v[26:27]
	v_lshlrev_b64 v[26:27], 2, v[28:29]
	s_delay_alu instid0(VALU_DEP_2) | instskip(NEXT) | instid1(VALU_DEP_3)
	v_add_co_u32 v24, vcc_lo, s4, v24
	v_add_co_ci_u32_e32 v25, vcc_lo, s5, v25, vcc_lo
	s_delay_alu instid0(VALU_DEP_3) | instskip(NEXT) | instid1(VALU_DEP_4)
	v_add_co_u32 v26, vcc_lo, s4, v26
	v_add_co_ci_u32_e32 v27, vcc_lo, s5, v27, vcc_lo
	s_clause 0x1
	global_load_b32 v5, v[24:25], off offset:-4
	global_load_b32 v7, v[26:27], off offset:-4
	s_waitcnt vmcnt(1)
	ds_store_b32 v6, v5 offset:720
	s_waitcnt vmcnt(0)
	ds_store_b32 v8, v7 offset:720
.LBB1_16:
	s_or_b32 exec_lo, exec_lo, s7
.LBB1_17:
	s_delay_alu instid0(SALU_CYCLE_1) | instskip(NEXT) | instid1(SALU_CYCLE_1)
	s_or_b32 exec_lo, exec_lo, s6
	s_mov_b32 s6, exec_lo
	v_cmpx_lt_i32_e32 2, v16
	s_xor_b32 s6, exec_lo, s6
	s_cbranch_execz .LBB1_24
; %bb.18:
	s_mov_b32 s7, exec_lo
	v_cmpx_eq_u32_e32 3, v16
	s_cbranch_execz .LBB1_23
; %bb.19:
	s_load_b32 s8, s[0:1], 0x40
	v_add_lshl_u32 v5, v15, v23, 2
	s_waitcnt lgkmcnt(0)
	s_add_i32 s8, s8, -1
	s_delay_alu instid0(SALU_CYCLE_1)
	s_cmp_lg_u32 s15, s8
	s_mov_b32 s8, -1
	s_cbranch_scc0 .LBB1_21
; %bb.20:
	s_add_i32 s8, s3, 4
	s_mul_i32 s9, s2, s2
	s_delay_alu instid0(SALU_CYCLE_1) | instskip(SKIP_1) | instid1(VALU_DEP_1)
	v_mad_u64_u32 v[6:7], null, s9, s8, v[4:5]
	s_mov_b32 s8, 0
	v_add_nc_u32_e32 v7, v6, v21
	v_add_nc_u32_e32 v23, v6, v22
	s_delay_alu instid0(VALU_DEP_2) | instskip(NEXT) | instid1(VALU_DEP_2)
	v_ashrrev_i32_e32 v8, 31, v7
	v_ashrrev_i32_e32 v24, 31, v23
	s_delay_alu instid0(VALU_DEP_2) | instskip(NEXT) | instid1(VALU_DEP_2)
	v_lshlrev_b64 v[6:7], 2, v[7:8]
	v_lshlrev_b64 v[23:24], 2, v[23:24]
	v_add_nc_u32_e32 v8, 0xc00, v5
	s_delay_alu instid0(VALU_DEP_3) | instskip(NEXT) | instid1(VALU_DEP_4)
	v_add_co_u32 v6, vcc_lo, s4, v6
	v_add_co_ci_u32_e32 v7, vcc_lo, s5, v7, vcc_lo
	s_delay_alu instid0(VALU_DEP_4)
	v_add_co_u32 v23, vcc_lo, s4, v23
	v_add_co_ci_u32_e32 v24, vcc_lo, s5, v24, vcc_lo
	s_clause 0x1
	global_load_b32 v6, v[6:7], off
	global_load_b32 v7, v[23:24], off
	s_waitcnt vmcnt(0)
	ds_store_2addr_b32 v8, v6, v7 offset0:151 offset1:169
.LBB1_21:
	s_and_not1_b32 vcc_lo, exec_lo, s8
	s_cbranch_vccnz .LBB1_23
; %bb.22:
	v_add_nc_u32_e32 v6, v21, v4
	v_add_nc_u32_e32 v21, v22, v4
	;; [unrolled: 1-line block ×3, first 2 shown]
	s_delay_alu instid0(VALU_DEP_3) | instskip(NEXT) | instid1(VALU_DEP_3)
	v_ashrrev_i32_e32 v7, 31, v6
	v_ashrrev_i32_e32 v22, 31, v21
	s_delay_alu instid0(VALU_DEP_2) | instskip(NEXT) | instid1(VALU_DEP_2)
	v_lshlrev_b64 v[6:7], 2, v[6:7]
	v_lshlrev_b64 v[21:22], 2, v[21:22]
	s_delay_alu instid0(VALU_DEP_2) | instskip(NEXT) | instid1(VALU_DEP_3)
	v_add_co_u32 v6, vcc_lo, s4, v6
	v_add_co_ci_u32_e32 v7, vcc_lo, s5, v7, vcc_lo
	s_delay_alu instid0(VALU_DEP_3) | instskip(NEXT) | instid1(VALU_DEP_4)
	v_add_co_u32 v21, vcc_lo, s4, v21
	v_add_co_ci_u32_e32 v22, vcc_lo, s5, v22, vcc_lo
	s_clause 0x1
	global_load_b32 v6, v[6:7], off
	global_load_b32 v7, v[21:22], off
	s_waitcnt vmcnt(0)
	ds_store_2addr_b32 v5, v6, v7 offset0:151 offset1:169
.LBB1_23:
	s_or_b32 exec_lo, exec_lo, s7
                                        ; implicit-def: $vgpr21
                                        ; implicit-def: $vgpr22
                                        ; implicit-def: $vgpr23
.LBB1_24:
	s_and_not1_saveexec_b32 s6, s6
	s_cbranch_execz .LBB1_30
; %bb.25:
	s_mov_b32 s7, exec_lo
	v_cmpx_eq_u32_e32 0, v16
	s_cbranch_execz .LBB1_29
; %bb.26:
	v_add_lshl_u32 v5, v23, v14, 2
	s_cmp_lg_u32 s15, 0
	s_mul_i32 s8, s2, s2
	s_cbranch_scc0 .LBB1_38
; %bb.27:
	s_add_i32 s3, s3, -1
	s_delay_alu instid0(SALU_CYCLE_1) | instskip(NEXT) | instid1(VALU_DEP_1)
	v_mad_u64_u32 v[6:7], null, s8, s3, v[4:5]
	v_add_nc_u32_e32 v7, v6, v21
	v_add_nc_u32_e32 v23, v6, v22
	s_delay_alu instid0(VALU_DEP_2) | instskip(NEXT) | instid1(VALU_DEP_2)
	v_ashrrev_i32_e32 v8, 31, v7
	v_ashrrev_i32_e32 v24, 31, v23
	s_delay_alu instid0(VALU_DEP_2) | instskip(NEXT) | instid1(VALU_DEP_2)
	v_lshlrev_b64 v[6:7], 2, v[7:8]
	v_lshlrev_b64 v[23:24], 2, v[23:24]
	s_delay_alu instid0(VALU_DEP_2) | instskip(NEXT) | instid1(VALU_DEP_3)
	v_add_co_u32 v6, vcc_lo, s4, v6
	v_add_co_ci_u32_e32 v7, vcc_lo, s5, v7, vcc_lo
	s_delay_alu instid0(VALU_DEP_3) | instskip(NEXT) | instid1(VALU_DEP_4)
	v_add_co_u32 v23, vcc_lo, s4, v23
	v_add_co_ci_u32_e32 v24, vcc_lo, s5, v24, vcc_lo
	s_clause 0x1
	global_load_b32 v6, v[6:7], off
	global_load_b32 v7, v[23:24], off
	s_waitcnt vmcnt(0)
	ds_store_2addr_b32 v5, v6, v7 offset0:18 offset1:36
	s_cbranch_execnz .LBB1_29
.LBB1_28:
	s_add_i32 s3, s2, -1
	s_delay_alu instid0(SALU_CYCLE_1) | instskip(NEXT) | instid1(VALU_DEP_1)
	v_mad_u64_u32 v[6:7], null, s8, s3, v[4:5]
	v_add_nc_u32_e32 v7, v6, v21
	v_add_nc_u32_e32 v21, v6, v22
	s_delay_alu instid0(VALU_DEP_2) | instskip(NEXT) | instid1(VALU_DEP_2)
	v_ashrrev_i32_e32 v8, 31, v7
	v_ashrrev_i32_e32 v22, 31, v21
	s_delay_alu instid0(VALU_DEP_2) | instskip(NEXT) | instid1(VALU_DEP_2)
	v_lshlrev_b64 v[6:7], 2, v[7:8]
	v_lshlrev_b64 v[21:22], 2, v[21:22]
	s_delay_alu instid0(VALU_DEP_2) | instskip(NEXT) | instid1(VALU_DEP_3)
	v_add_co_u32 v6, vcc_lo, s4, v6
	v_add_co_ci_u32_e32 v7, vcc_lo, s5, v7, vcc_lo
	s_delay_alu instid0(VALU_DEP_3) | instskip(NEXT) | instid1(VALU_DEP_4)
	v_add_co_u32 v21, vcc_lo, s4, v21
	v_add_co_ci_u32_e32 v22, vcc_lo, s5, v22, vcc_lo
	s_clause 0x1
	global_load_b32 v6, v[6:7], off
	global_load_b32 v7, v[21:22], off
	s_waitcnt vmcnt(0)
	ds_store_2addr_b32 v5, v6, v7 offset0:18 offset1:36
.LBB1_29:
	s_or_b32 exec_lo, exec_lo, s7
.LBB1_30:
	s_delay_alu instid0(SALU_CYCLE_1)
	s_or_b32 exec_lo, exec_lo, s6
	v_ashrrev_i32_e32 v5, 31, v20
	s_lshl_b32 s3, s14, 2
	s_load_b128 s[4:7], s[0:1], 0x20
	s_and_b32 s3, s3, 0x7ffffffc
	s_load_b64 s[0:1], s[0:1], 0x18
	v_lshrrev_b32_e32 v5, 30, v5
	v_add_nc_u32_e32 v6, s3, v18
	s_waitcnt vmcnt(1)
	v_cvt_f32_i32_e32 v10, v10
	v_add_nc_u32_e32 v8, v15, v16
	v_add_nc_u32_e32 v18, v19, v14
	;; [unrolled: 1-line block ×3, first 2 shown]
	v_mul_lo_u32 v6, v6, s2
	v_add_nc_u32_e32 v24, 2, v15
	v_and_or_b32 v8, v8, 1, v17
	v_add_nc_u32_e32 v26, 36, v18
	v_ashrrev_i32_e32 v5, 2, v5
	v_add_nc_u32_e32 v19, v15, v19
	s_waitcnt vmcnt(0)
	v_cvt_f32_i32_e32 v9, v9
	v_mad_u32_u24 v25, v8, 18, v11
	v_mul_u32_u24_e32 v16, 18, v8
	v_add3_u32 v4, v6, v4, v5
	v_mad_u32_u24 v27, v8, 18, 18
	v_xor_b32_e32 v8, 1, v8
	v_add_lshl_u32 v17, v25, v15, 2
	v_add_lshl_u32 v28, v25, v24, 2
	v_ashrrev_i32_e32 v5, 31, v4
	v_add_lshl_u32 v29, v18, v16, 2
	v_add_lshl_u32 v30, v26, v16, 2
	;; [unrolled: 1-line block ×4, first 2 shown]
	v_lshlrev_b64 v[4:5], 3, v[4:5]
	v_add_lshl_u32 v25, v25, v14, 2
	s_waitcnt lgkmcnt(0)
	s_delay_alu instid0(VALU_DEP_2) | instskip(NEXT) | instid1(VALU_DEP_3)
	v_add_co_u32 v6, vcc_lo, s4, v4
	v_add_co_ci_u32_e32 v7, vcc_lo, s5, v5, vcc_lo
	v_add_co_u32 v4, vcc_lo, s6, v4
	v_add_co_ci_u32_e32 v5, vcc_lo, s7, v5, vcc_lo
	global_load_b64 v[20:21], v[6:7], off
	global_load_b64 v[22:23], v[4:5], off
	s_waitcnt vmcnt(0)
	s_barrier
	buffer_gl0_inv
	ds_load_2addr_b32 v[16:17], v17 offset0:18 offset1:19
	ds_load_b32 v28, v28 offset:72
	ds_load_b32 v29, v29 offset:720
	;; [unrolled: 1-line block ×5, first 2 shown]
	s_waitcnt lgkmcnt(4)
	v_add_nc_u32_e32 v16, v28, v16
	s_waitcnt lgkmcnt(2)
	s_delay_alu instid0(VALU_DEP_1) | instskip(SKIP_1) | instid1(VALU_DEP_1)
	v_add3_u32 v16, v16, v29, v30
	s_waitcnt lgkmcnt(0)
	v_add3_u32 v16, v16, v31, v27
	v_cvt_f32_i32_e32 v27, v17
	s_delay_alu instid0(VALU_DEP_2) | instskip(NEXT) | instid1(VALU_DEP_1)
	v_cvt_f32_i32_e32 v16, v16
	v_fmac_f32_e32 v16, s0, v10
	s_delay_alu instid0(VALU_DEP_1)
	v_mul_f32_e32 v10, v16, v27
	v_fmaak_f32 v16, v16, v27, 0xad2febff
	v_mad_u32_u24 v27, v8, 18, v11
	v_mul_u32_u24_e32 v11, 18, v8
	v_mad_u32_u24 v8, v8, 18, 18
	v_mul_f32_e32 v10, s1, v10
	s_delay_alu instid0(VALU_DEP_4) | instskip(SKIP_1) | instid1(VALU_DEP_3)
	v_add_lshl_u32 v15, v27, v15, 2
	v_add_lshl_u32 v14, v27, v14, 2
	v_mul_f32_e32 v28, 0x3fb8aa3b, v10
	v_cmp_ngt_f32_e32 vcc_lo, 0xc2ce8ed0, v10
	s_delay_alu instid0(VALU_DEP_2) | instskip(SKIP_1) | instid1(VALU_DEP_2)
	v_fma_f32 v29, 0x3fb8aa3b, v10, -v28
	v_rndne_f32_e32 v30, v28
	v_fmac_f32_e32 v29, 0x32a5705f, v10
	s_delay_alu instid0(VALU_DEP_2) | instskip(NEXT) | instid1(VALU_DEP_1)
	v_sub_f32_e32 v28, v28, v30
	v_add_f32_e32 v28, v28, v29
	v_cvt_i32_f32_e32 v29, v30
	s_delay_alu instid0(VALU_DEP_2) | instskip(SKIP_2) | instid1(VALU_DEP_1)
	v_exp_f32_e32 v28, v28
	s_waitcnt_depctr 0xfff
	v_ldexp_f32 v28, v28, v29
	v_cndmask_b32_e32 v28, 0, v28, vcc_lo
	v_cmp_nlt_f32_e32 vcc_lo, 0x42b17218, v10
	s_delay_alu instid0(VALU_DEP_2) | instskip(SKIP_4) | instid1(VALU_DEP_3)
	v_cndmask_b32_e32 v10, 0x7f800000, v28, vcc_lo
	v_lshrrev_b32_e32 v30, 13, v21
	v_alignbit_b32 v31, v21, v20, 27
	v_lshrrev_b32_e32 v29, 27, v21
	v_mul_lo_u32 v21, 0x4c957f2d, v21
	v_xor_b32_e32 v30, v30, v31
	s_delay_alu instid0(VALU_DEP_1) | instskip(NEXT) | instid1(VALU_DEP_1)
	v_alignbit_b32 v29, v30, v30, v29
	v_cvt_f32_u32_e32 v28, v29
	s_delay_alu instid0(VALU_DEP_1) | instskip(NEXT) | instid1(VALU_DEP_1)
	v_fma_f32 v10, 0x2f800000, v28, -v10
	v_or_b32_e32 v10, v10, v16
	v_sub_nc_u32_e32 v16, 0, v17
	s_delay_alu instid0(VALU_DEP_2) | instskip(NEXT) | instid1(VALU_DEP_2)
	v_cmp_gt_i32_e32 vcc_lo, 0, v10
	v_cndmask_b32_e32 v10, v17, v16, vcc_lo
	v_add_lshl_u32 v16, v27, v24, 2
	v_add_lshl_u32 v17, v18, v11, 2
	;; [unrolled: 1-line block ×3, first 2 shown]
	ds_store_b32 v25, v10 offset:72
	s_waitcnt lgkmcnt(0)
	s_barrier
	buffer_gl0_inv
	ds_load_2addr_b32 v[10:11], v15 offset0:18 offset1:19
	ds_load_b32 v15, v16 offset:72
	v_add_lshl_u32 v16, v19, v8, 2
	v_add_lshl_u32 v8, v18, v8, 2
	ds_load_b32 v17, v17 offset:720
	ds_load_b32 v18, v24 offset:720
	;; [unrolled: 1-line block ×4, first 2 shown]
	s_waitcnt lgkmcnt(4)
	v_add_nc_u32_e32 v10, v15, v10
	v_cvt_f32_i32_e32 v15, v11
	s_waitcnt lgkmcnt(2)
	s_delay_alu instid0(VALU_DEP_2) | instskip(SKIP_1) | instid1(VALU_DEP_1)
	v_add3_u32 v10, v10, v17, v18
	s_waitcnt lgkmcnt(0)
	v_add3_u32 v8, v10, v16, v8
	s_delay_alu instid0(VALU_DEP_1) | instskip(NEXT) | instid1(VALU_DEP_1)
	v_cvt_f32_i32_e32 v10, v8
	v_fmac_f32_e32 v10, s0, v9
	s_delay_alu instid0(VALU_DEP_1) | instskip(SKIP_1) | instid1(VALU_DEP_2)
	v_mul_f32_e32 v8, v10, v15
	v_fmaak_f32 v10, v10, v15, 0xad2febff
	v_mul_f32_e32 v16, s1, v8
	v_mad_u64_u32 v[8:9], null, 0x4c957f2d, v20, v[22:23]
	v_mul_lo_u32 v20, 0x5851f42d, v20
	s_delay_alu instid0(VALU_DEP_3) | instskip(SKIP_1) | instid1(VALU_DEP_2)
	v_mul_f32_e32 v17, 0x3fb8aa3b, v16
	v_cmp_ngt_f32_e32 vcc_lo, 0xc2ce8ed0, v16
	v_fma_f32 v18, 0x3fb8aa3b, v16, -v17
	v_rndne_f32_e32 v19, v17
	s_delay_alu instid0(VALU_DEP_1) | instskip(SKIP_1) | instid1(VALU_DEP_2)
	v_dual_fmac_f32 v18, 0x32a5705f, v16 :: v_dual_sub_f32 v17, v17, v19
	v_cvt_i32_f32_e32 v19, v19
	v_add_f32_e32 v17, v17, v18
	v_add3_u32 v18, v21, v9, v20
	s_delay_alu instid0(VALU_DEP_2) | instskip(NEXT) | instid1(VALU_DEP_1)
	v_exp_f32_e32 v9, v17
	v_lshrrev_b32_e32 v17, 13, v18
	v_alignbit_b32 v20, v18, v8, 27
	v_lshrrev_b32_e32 v21, 27, v18
	s_delay_alu instid0(VALU_DEP_2) | instskip(SKIP_3) | instid1(VALU_DEP_2)
	v_xor_b32_e32 v17, v17, v20
	s_waitcnt_depctr 0xfff
	v_ldexp_f32 v9, v9, v19
	v_alignbit_b32 v17, v17, v17, v21
	v_cndmask_b32_e32 v9, 0, v9, vcc_lo
	v_cmp_nlt_f32_e32 vcc_lo, 0x42b17218, v16
	s_delay_alu instid0(VALU_DEP_3) | instskip(NEXT) | instid1(VALU_DEP_3)
	v_cvt_f32_u32_e32 v17, v17
	v_cndmask_b32_e32 v9, 0x7f800000, v9, vcc_lo
	s_delay_alu instid0(VALU_DEP_1) | instskip(NEXT) | instid1(VALU_DEP_1)
	v_fma_f32 v9, 0x2f800000, v17, -v9
	v_or_b32_e32 v9, v9, v10
	v_sub_nc_u32_e32 v10, 0, v11
	s_delay_alu instid0(VALU_DEP_2) | instskip(NEXT) | instid1(VALU_DEP_2)
	v_cmp_gt_i32_e32 vcc_lo, 0, v9
	v_cndmask_b32_e32 v9, v11, v10, vcc_lo
	ds_store_b32 v14, v9 offset:72
	s_waitcnt lgkmcnt(0)
	s_barrier
	buffer_gl0_inv
	ds_load_b32 v11, v13 offset:720
	ds_load_b32 v12, v12 offset:720
	v_mul_lo_u32 v13, 0x5851f42d, v8
	v_mad_u64_u32 v[9:10], null, 0x4c957f2d, v8, v[22:23]
	v_mul_lo_u32 v8, 0x4c957f2d, v18
	s_delay_alu instid0(VALU_DEP_1)
	v_add3_u32 v10, v8, v10, v13
	global_store_b64 v[6:7], v[9:10], off
	s_waitcnt lgkmcnt(1)
	global_store_b32 v[0:1], v11, off
	s_waitcnt lgkmcnt(0)
	global_store_b32 v[2:3], v12, off
	global_store_b64 v[4:5], v[22:23], off
	s_nop 0
	s_sendmsg sendmsg(MSG_DEALLOC_VGPRS)
	s_endpgm
.LBB1_31:
	s_mov_b32 s10, exec_lo
                                        ; implicit-def: $vgpr26
                                        ; implicit-def: $vgpr8
	v_cmpx_eq_u32_e32 3, v18
; %bb.32:
	v_add3_u32 v6, v6, s9, 8
	s_add_i32 s11, s2, -8
	s_mov_b32 s6, exec_lo
	s_cmp_eq_u32 s9, s11
	v_add3_u32 v8, v14, v19, 0x156
	v_mul_lo_u32 v6, v6, s2
	s_cselect_b32 vcc_lo, -1, 0
	s_delay_alu instid0(VALU_DEP_1)
	v_cndmask_b32_e32 v26, v6, v20, vcc_lo
; %bb.33:
	s_or_b32 exec_lo, exec_lo, s10
	s_delay_alu instid0(SALU_CYCLE_1)
	s_and_b32 s6, s6, exec_lo
                                        ; implicit-def: $vgpr6
	s_or_saveexec_b32 s7, s7
	v_add_nc_u32_e32 v11, 0xb4, v19
	s_xor_b32 exec_lo, exec_lo, s7
	s_cbranch_execz .LBB1_2
.LBB1_34:
	s_mov_b32 s10, s6
	s_mov_b32 s11, exec_lo
                                        ; implicit-def: $vgpr26
                                        ; implicit-def: $vgpr8
	v_cmpx_eq_u32_e32 0, v18
; %bb.35:
	s_cmp_eq_u32 s9, 0
	v_add_nc_u32_e32 v8, v11, v14
	s_cselect_b32 s9, s2, s9
	s_or_b32 s10, s6, exec_lo
	v_add3_u32 v6, v6, s9, -1
	s_delay_alu instid0(VALU_DEP_1)
	v_mul_lo_u32 v26, v6, s2
; %bb.36:
	s_or_b32 exec_lo, exec_lo, s11
	s_delay_alu instid0(SALU_CYCLE_1) | instskip(SKIP_1) | instid1(SALU_CYCLE_1)
	s_and_not1_b32 s6, s6, exec_lo
	s_and_b32 s9, s10, exec_lo
	s_or_b32 s6, s6, s9
	s_or_b32 exec_lo, exec_lo, s7
	s_and_saveexec_b32 s7, s6
	s_cbranch_execnz .LBB1_3
	s_branch .LBB1_4
.LBB1_37:
	s_branch .LBB1_15
.LBB1_38:
	s_branch .LBB1_28
	.section	.rodata,"a",@progbits
	.p2align	6, 0x0
	.amdhsa_kernel _Z17kernel_metropolisiiPiPKiffPmS2_i
		.amdhsa_group_segment_fixed_size 4320
		.amdhsa_private_segment_fixed_size 0
		.amdhsa_kernarg_size 312
		.amdhsa_user_sgpr_count 13
		.amdhsa_user_sgpr_dispatch_ptr 0
		.amdhsa_user_sgpr_queue_ptr 0
		.amdhsa_user_sgpr_kernarg_segment_ptr 1
		.amdhsa_user_sgpr_dispatch_id 0
		.amdhsa_user_sgpr_private_segment_size 0
		.amdhsa_wavefront_size32 1
		.amdhsa_uses_dynamic_stack 0
		.amdhsa_enable_private_segment 0
		.amdhsa_system_sgpr_workgroup_id_x 1
		.amdhsa_system_sgpr_workgroup_id_y 1
		.amdhsa_system_sgpr_workgroup_id_z 1
		.amdhsa_system_sgpr_workgroup_info 0
		.amdhsa_system_vgpr_workitem_id 2
		.amdhsa_next_free_vgpr 32
		.amdhsa_next_free_sgpr 16
		.amdhsa_reserve_vcc 1
		.amdhsa_float_round_mode_32 0
		.amdhsa_float_round_mode_16_64 0
		.amdhsa_float_denorm_mode_32 3
		.amdhsa_float_denorm_mode_16_64 3
		.amdhsa_dx10_clamp 1
		.amdhsa_ieee_mode 1
		.amdhsa_fp16_overflow 0
		.amdhsa_workgroup_processor_mode 1
		.amdhsa_memory_ordered 1
		.amdhsa_forward_progress 0
		.amdhsa_shared_vgpr_count 0
		.amdhsa_exception_fp_ieee_invalid_op 0
		.amdhsa_exception_fp_denorm_src 0
		.amdhsa_exception_fp_ieee_div_zero 0
		.amdhsa_exception_fp_ieee_overflow 0
		.amdhsa_exception_fp_ieee_underflow 0
		.amdhsa_exception_fp_ieee_inexact 0
		.amdhsa_exception_int_div_zero 0
	.end_amdhsa_kernel
	.text
.Lfunc_end1:
	.size	_Z17kernel_metropolisiiPiPKiffPmS2_i, .Lfunc_end1-_Z17kernel_metropolisiiPiPKiffPmS2_i
                                        ; -- End function
	.section	.AMDGPU.csdata,"",@progbits
; Kernel info:
; codeLenInByte = 3084
; NumSgprs: 18
; NumVgprs: 32
; ScratchSize: 0
; MemoryBound: 0
; FloatMode: 240
; IeeeMode: 1
; LDSByteSize: 4320 bytes/workgroup (compile time only)
; SGPRBlocks: 2
; VGPRBlocks: 3
; NumSGPRsForWavesPerEU: 18
; NumVGPRsForWavesPerEU: 32
; Occupancy: 16
; WaveLimiterHint : 0
; COMPUTE_PGM_RSRC2:SCRATCH_EN: 0
; COMPUTE_PGM_RSRC2:USER_SGPR: 13
; COMPUTE_PGM_RSRC2:TRAP_HANDLER: 0
; COMPUTE_PGM_RSRC2:TGID_X_EN: 1
; COMPUTE_PGM_RSRC2:TGID_Y_EN: 1
; COMPUTE_PGM_RSRC2:TGID_Z_EN: 1
; COMPUTE_PGM_RSRC2:TIDIG_COMP_CNT: 2
	.text
	.protected	_Z26kernel_reset_random_gpupcgPiiPmS0_ ; -- Begin function _Z26kernel_reset_random_gpupcgPiiPmS0_
	.globl	_Z26kernel_reset_random_gpupcgPiiPmS0_
	.p2align	8
	.type	_Z26kernel_reset_random_gpupcgPiiPmS0_,@function
_Z26kernel_reset_random_gpupcgPiiPmS0_: ; @_Z26kernel_reset_random_gpupcgPiiPmS0_
; %bb.0:
	s_clause 0x1
	s_load_b32 s2, s[0:1], 0x2c
	s_load_b32 s4, s[0:1], 0x8
	s_mov_b32 s3, exec_lo
	s_waitcnt lgkmcnt(0)
	s_and_b32 s2, s2, 0xffff
	s_delay_alu instid0(SALU_CYCLE_1) | instskip(SKIP_1) | instid1(SALU_CYCLE_1)
	v_mad_u64_u32 v[1:2], null, s15, s2, v[0:1]
	s_ashr_i32 s2, s4, 31
	s_lshr_b32 s2, s2, 30
	s_delay_alu instid0(SALU_CYCLE_1) | instskip(NEXT) | instid1(SALU_CYCLE_1)
	s_add_i32 s2, s4, s2
	s_ashr_i32 s2, s2, 2
	s_delay_alu instid0(VALU_DEP_1) | instid1(SALU_CYCLE_1)
	v_cmpx_gt_i32_e64 s2, v1
	s_cbranch_execz .LBB2_2
; %bb.1:
	s_load_b128 s[8:11], s[0:1], 0x10
	v_ashrrev_i32_e32 v2, 31, v1
	s_load_b64 s[0:1], s[0:1], 0x0
	s_lshr_b32 s5, s4, 31
	s_mul_i32 s6, s4, 3
	s_add_i32 s4, s4, s5
	v_lshlrev_b64 v[3:4], 3, v[1:2]
	v_lshlrev_b64 v[0:1], 2, v[1:2]
	s_ashr_i32 s5, s6, 31
	s_ashr_i32 s3, s2, 31
	s_lshr_b32 s5, s5, 30
	s_ashr_i32 s4, s4, 1
	s_lshl_b64 s[2:3], s[2:3], 2
	s_add_i32 s6, s6, s5
	s_ashr_i32 s5, s4, 31
	s_ashr_i32 s6, s6, 2
	s_lshl_b64 s[4:5], s[4:5], 2
	s_ashr_i32 s7, s6, 31
	s_delay_alu instid0(SALU_CYCLE_1)
	s_lshl_b64 s[6:7], s[6:7], 2
	s_waitcnt lgkmcnt(0)
	v_add_co_u32 v5, vcc_lo, s8, v3
	v_add_co_ci_u32_e32 v6, vcc_lo, s9, v4, vcc_lo
	v_add_co_u32 v3, vcc_lo, s10, v3
	v_add_co_ci_u32_e32 v4, vcc_lo, s11, v4, vcc_lo
	v_add_co_u32 v0, vcc_lo, s0, v0
	global_load_b64 v[7:8], v[5:6], off
	global_load_b64 v[9:10], v[3:4], off
	v_add_co_ci_u32_e32 v1, vcc_lo, s1, v1, vcc_lo
	s_waitcnt vmcnt(1)
	v_mul_lo_u32 v13, 0x5851f42d, v7
	s_waitcnt vmcnt(0)
	v_mad_u64_u32 v[11:12], null, 0x4c957f2d, v7, v[9:10]
	v_mul_lo_u32 v14, 0x4c957f2d, v8
	v_lshrrev_b32_e32 v16, 13, v8
	v_alignbit_b32 v7, v8, v7, 27
	v_lshrrev_b32_e32 v17, 27, v8
	s_delay_alu instid0(VALU_DEP_4) | instskip(SKIP_2) | instid1(VALU_DEP_3)
	v_add3_u32 v2, v14, v12, v13
	v_mul_lo_u32 v14, 0x5851f42d, v11
	v_mad_u64_u32 v[12:13], null, 0x4c957f2d, v11, v[9:10]
	v_mul_lo_u32 v15, 0x4c957f2d, v2
	v_alignbit_b32 v11, v2, v11, 27
	s_delay_alu instid0(VALU_DEP_2) | instskip(SKIP_3) | instid1(VALU_DEP_4)
	v_add3_u32 v13, v15, v13, v14
	v_xor_b32_e32 v14, v16, v7
	v_mul_lo_u32 v15, 0x5851f42d, v12
	v_mad_u64_u32 v[7:8], null, 0x4c957f2d, v12, v[9:10]
	v_mul_lo_u32 v16, 0x4c957f2d, v13
	s_delay_alu instid0(VALU_DEP_4) | instskip(SKIP_3) | instid1(VALU_DEP_4)
	v_alignbit_b32 v14, v14, v14, v17
	v_lshrrev_b32_e32 v17, 13, v2
	v_alignbit_b32 v12, v13, v12, 27
	v_lshrrev_b32_e32 v2, 27, v2
	v_cvt_f32_u32_e32 v14, v14
	s_delay_alu instid0(VALU_DEP_4) | instskip(SKIP_4) | instid1(VALU_DEP_4)
	v_xor_b32_e32 v17, v17, v11
	v_add3_u32 v8, v16, v8, v15
	v_lshrrev_b32_e32 v15, 13, v13
	v_lshrrev_b32_e32 v13, 27, v13
	v_add_co_u32 v11, vcc_lo, v0, s2
	v_lshrrev_b32_e32 v16, 13, v8
	v_alignbit_b32 v18, v8, v7, 27
	v_xor_b32_e32 v15, v15, v12
	v_lshrrev_b32_e32 v19, 27, v8
	v_alignbit_b32 v2, v17, v17, v2
	v_add_co_ci_u32_e32 v12, vcc_lo, s3, v1, vcc_lo
	v_xor_b32_e32 v16, v16, v18
	v_alignbit_b32 v15, v15, v15, v13
	s_delay_alu instid0(VALU_DEP_4)
	v_cvt_f32_u32_e32 v2, v2
	v_fma_f32 v18, 0x2f800000, v14, 0.5
	v_add_co_u32 v13, vcc_lo, v0, s4
	v_alignbit_b32 v16, v16, v16, v19
	v_cvt_f32_u32_e32 v15, v15
	v_fma_f32 v2, 0x2f800000, v2, 0.5
	v_cvt_i32_f32_e32 v17, v18
	v_mul_lo_u32 v18, 0x5851f42d, v7
	v_cvt_f32_u32_e32 v16, v16
	v_fma_f32 v19, 0x2f800000, v15, 0.5
	v_cvt_i32_f32_e32 v2, v2
	v_cvt_f32_i32_e32 v17, v17
	v_add_co_ci_u32_e32 v14, vcc_lo, s5, v1, vcc_lo
	v_fma_f32 v20, 0x2f800000, v16, 0.5
	v_mad_u64_u32 v[15:16], null, 0x4c957f2d, v7, v[9:10]
	v_cvt_i32_f32_e32 v7, v19
	v_cvt_f32_i32_e32 v2, v2
	s_delay_alu instid0(VALU_DEP_4)
	v_cvt_i32_f32_e32 v19, v20
	v_mul_lo_u32 v20, 0x4c957f2d, v8
	v_fma_f32 v17, v17, -2.0, 1.0
	v_cvt_f32_i32_e32 v21, v7
	v_fma_f32 v2, v2, -2.0, 1.0
	v_cvt_f32_i32_e32 v19, v19
	v_add_co_u32 v7, vcc_lo, v0, s6
	s_delay_alu instid0(VALU_DEP_4) | instskip(SKIP_1) | instid1(VALU_DEP_4)
	v_fma_f32 v21, v21, -2.0, 1.0
	v_cvt_i32_f32_e32 v17, v17
	v_fma_f32 v19, v19, -2.0, 1.0
	v_add3_u32 v16, v20, v16, v18
	v_cvt_i32_f32_e32 v2, v2
	v_cvt_i32_f32_e32 v18, v21
	v_add_co_ci_u32_e32 v8, vcc_lo, s7, v1, vcc_lo
	v_cvt_i32_f32_e32 v19, v19
	global_store_b32 v[0:1], v17, off
	global_store_b64 v[5:6], v[15:16], off
	s_clause 0x2
	global_store_b32 v[11:12], v2, off
	global_store_b32 v[13:14], v18, off
	;; [unrolled: 1-line block ×3, first 2 shown]
	global_store_b64 v[3:4], v[9:10], off
.LBB2_2:
	s_nop 0
	s_sendmsg sendmsg(MSG_DEALLOC_VGPRS)
	s_endpgm
	.section	.rodata,"a",@progbits
	.p2align	6, 0x0
	.amdhsa_kernel _Z26kernel_reset_random_gpupcgPiiPmS0_
		.amdhsa_group_segment_fixed_size 0
		.amdhsa_private_segment_fixed_size 0
		.amdhsa_kernarg_size 288
		.amdhsa_user_sgpr_count 15
		.amdhsa_user_sgpr_dispatch_ptr 0
		.amdhsa_user_sgpr_queue_ptr 0
		.amdhsa_user_sgpr_kernarg_segment_ptr 1
		.amdhsa_user_sgpr_dispatch_id 0
		.amdhsa_user_sgpr_private_segment_size 0
		.amdhsa_wavefront_size32 1
		.amdhsa_uses_dynamic_stack 0
		.amdhsa_enable_private_segment 0
		.amdhsa_system_sgpr_workgroup_id_x 1
		.amdhsa_system_sgpr_workgroup_id_y 0
		.amdhsa_system_sgpr_workgroup_id_z 0
		.amdhsa_system_sgpr_workgroup_info 0
		.amdhsa_system_vgpr_workitem_id 0
		.amdhsa_next_free_vgpr 22
		.amdhsa_next_free_sgpr 16
		.amdhsa_reserve_vcc 1
		.amdhsa_float_round_mode_32 0
		.amdhsa_float_round_mode_16_64 0
		.amdhsa_float_denorm_mode_32 3
		.amdhsa_float_denorm_mode_16_64 3
		.amdhsa_dx10_clamp 1
		.amdhsa_ieee_mode 1
		.amdhsa_fp16_overflow 0
		.amdhsa_workgroup_processor_mode 1
		.amdhsa_memory_ordered 1
		.amdhsa_forward_progress 0
		.amdhsa_shared_vgpr_count 0
		.amdhsa_exception_fp_ieee_invalid_op 0
		.amdhsa_exception_fp_denorm_src 0
		.amdhsa_exception_fp_ieee_div_zero 0
		.amdhsa_exception_fp_ieee_overflow 0
		.amdhsa_exception_fp_ieee_underflow 0
		.amdhsa_exception_fp_ieee_inexact 0
		.amdhsa_exception_int_div_zero 0
	.end_amdhsa_kernel
	.text
.Lfunc_end2:
	.size	_Z26kernel_reset_random_gpupcgPiiPmS0_, .Lfunc_end2-_Z26kernel_reset_random_gpupcgPiiPmS0_
                                        ; -- End function
	.section	.AMDGPU.csdata,"",@progbits
; Kernel info:
; codeLenInByte = 804
; NumSgprs: 18
; NumVgprs: 22
; ScratchSize: 0
; MemoryBound: 0
; FloatMode: 240
; IeeeMode: 1
; LDSByteSize: 0 bytes/workgroup (compile time only)
; SGPRBlocks: 2
; VGPRBlocks: 2
; NumSGPRsForWavesPerEU: 18
; NumVGPRsForWavesPerEU: 22
; Occupancy: 16
; WaveLimiterHint : 0
; COMPUTE_PGM_RSRC2:SCRATCH_EN: 0
; COMPUTE_PGM_RSRC2:USER_SGPR: 15
; COMPUTE_PGM_RSRC2:TRAP_HANDLER: 0
; COMPUTE_PGM_RSRC2:TGID_X_EN: 1
; COMPUTE_PGM_RSRC2:TGID_Y_EN: 0
; COMPUTE_PGM_RSRC2:TGID_Z_EN: 0
; COMPUTE_PGM_RSRC2:TIDIG_COMP_CNT: 0
	.section	.text._Z12kernel_resetIiEvPT_iS0_,"axG",@progbits,_Z12kernel_resetIiEvPT_iS0_,comdat
	.protected	_Z12kernel_resetIiEvPT_iS0_ ; -- Begin function _Z12kernel_resetIiEvPT_iS0_
	.globl	_Z12kernel_resetIiEvPT_iS0_
	.p2align	8
	.type	_Z12kernel_resetIiEvPT_iS0_,@function
_Z12kernel_resetIiEvPT_iS0_:            ; @_Z12kernel_resetIiEvPT_iS0_
; %bb.0:
	s_clause 0x1
	s_load_b32 s4, s[0:1], 0x1c
	s_load_b64 s[2:3], s[0:1], 0x8
	s_waitcnt lgkmcnt(0)
	s_and_b32 s4, s4, 0xffff
	s_delay_alu instid0(SALU_CYCLE_1) | instskip(NEXT) | instid1(VALU_DEP_1)
	v_mad_u64_u32 v[1:2], null, s15, s4, v[0:1]
	v_cmp_gt_i32_e32 vcc_lo, s2, v1
	s_and_saveexec_b32 s2, vcc_lo
	s_cbranch_execz .LBB3_2
; %bb.1:
	s_load_b64 s[0:1], s[0:1], 0x0
	v_ashrrev_i32_e32 v2, 31, v1
	s_delay_alu instid0(VALU_DEP_1) | instskip(SKIP_2) | instid1(VALU_DEP_2)
	v_lshlrev_b64 v[0:1], 2, v[1:2]
	v_mov_b32_e32 v2, s3
	s_waitcnt lgkmcnt(0)
	v_add_co_u32 v0, vcc_lo, s0, v0
	s_delay_alu instid0(VALU_DEP_3)
	v_add_co_ci_u32_e32 v1, vcc_lo, s1, v1, vcc_lo
	global_store_b32 v[0:1], v2, off
.LBB3_2:
	s_nop 0
	s_sendmsg sendmsg(MSG_DEALLOC_VGPRS)
	s_endpgm
	.section	.rodata,"a",@progbits
	.p2align	6, 0x0
	.amdhsa_kernel _Z12kernel_resetIiEvPT_iS0_
		.amdhsa_group_segment_fixed_size 0
		.amdhsa_private_segment_fixed_size 0
		.amdhsa_kernarg_size 272
		.amdhsa_user_sgpr_count 15
		.amdhsa_user_sgpr_dispatch_ptr 0
		.amdhsa_user_sgpr_queue_ptr 0
		.amdhsa_user_sgpr_kernarg_segment_ptr 1
		.amdhsa_user_sgpr_dispatch_id 0
		.amdhsa_user_sgpr_private_segment_size 0
		.amdhsa_wavefront_size32 1
		.amdhsa_uses_dynamic_stack 0
		.amdhsa_enable_private_segment 0
		.amdhsa_system_sgpr_workgroup_id_x 1
		.amdhsa_system_sgpr_workgroup_id_y 0
		.amdhsa_system_sgpr_workgroup_id_z 0
		.amdhsa_system_sgpr_workgroup_info 0
		.amdhsa_system_vgpr_workitem_id 0
		.amdhsa_next_free_vgpr 3
		.amdhsa_next_free_sgpr 16
		.amdhsa_reserve_vcc 1
		.amdhsa_float_round_mode_32 0
		.amdhsa_float_round_mode_16_64 0
		.amdhsa_float_denorm_mode_32 3
		.amdhsa_float_denorm_mode_16_64 3
		.amdhsa_dx10_clamp 1
		.amdhsa_ieee_mode 1
		.amdhsa_fp16_overflow 0
		.amdhsa_workgroup_processor_mode 1
		.amdhsa_memory_ordered 1
		.amdhsa_forward_progress 0
		.amdhsa_shared_vgpr_count 0
		.amdhsa_exception_fp_ieee_invalid_op 0
		.amdhsa_exception_fp_denorm_src 0
		.amdhsa_exception_fp_ieee_div_zero 0
		.amdhsa_exception_fp_ieee_overflow 0
		.amdhsa_exception_fp_ieee_underflow 0
		.amdhsa_exception_fp_ieee_inexact 0
		.amdhsa_exception_int_div_zero 0
	.end_amdhsa_kernel
	.section	.text._Z12kernel_resetIiEvPT_iS0_,"axG",@progbits,_Z12kernel_resetIiEvPT_iS0_,comdat
.Lfunc_end3:
	.size	_Z12kernel_resetIiEvPT_iS0_, .Lfunc_end3-_Z12kernel_resetIiEvPT_iS0_
                                        ; -- End function
	.section	.AMDGPU.csdata,"",@progbits
; Kernel info:
; codeLenInByte = 124
; NumSgprs: 18
; NumVgprs: 3
; ScratchSize: 0
; MemoryBound: 0
; FloatMode: 240
; IeeeMode: 1
; LDSByteSize: 0 bytes/workgroup (compile time only)
; SGPRBlocks: 2
; VGPRBlocks: 0
; NumSGPRsForWavesPerEU: 18
; NumVGPRsForWavesPerEU: 3
; Occupancy: 16
; WaveLimiterHint : 0
; COMPUTE_PGM_RSRC2:SCRATCH_EN: 0
; COMPUTE_PGM_RSRC2:USER_SGPR: 15
; COMPUTE_PGM_RSRC2:TRAP_HANDLER: 0
; COMPUTE_PGM_RSRC2:TGID_X_EN: 1
; COMPUTE_PGM_RSRC2:TGID_Y_EN: 0
; COMPUTE_PGM_RSRC2:TGID_Z_EN: 0
; COMPUTE_PGM_RSRC2:TIDIG_COMP_CNT: 0
	.section	.text._Z12kernel_resetIfEvPT_iS0_,"axG",@progbits,_Z12kernel_resetIfEvPT_iS0_,comdat
	.protected	_Z12kernel_resetIfEvPT_iS0_ ; -- Begin function _Z12kernel_resetIfEvPT_iS0_
	.globl	_Z12kernel_resetIfEvPT_iS0_
	.p2align	8
	.type	_Z12kernel_resetIfEvPT_iS0_,@function
_Z12kernel_resetIfEvPT_iS0_:            ; @_Z12kernel_resetIfEvPT_iS0_
; %bb.0:
	s_clause 0x1
	s_load_b32 s4, s[0:1], 0x1c
	s_load_b64 s[2:3], s[0:1], 0x8
	s_waitcnt lgkmcnt(0)
	s_and_b32 s4, s4, 0xffff
	s_delay_alu instid0(SALU_CYCLE_1) | instskip(NEXT) | instid1(VALU_DEP_1)
	v_mad_u64_u32 v[1:2], null, s15, s4, v[0:1]
	v_cmp_gt_i32_e32 vcc_lo, s2, v1
	s_and_saveexec_b32 s2, vcc_lo
	s_cbranch_execz .LBB4_2
; %bb.1:
	s_load_b64 s[0:1], s[0:1], 0x0
	v_ashrrev_i32_e32 v2, 31, v1
	s_delay_alu instid0(VALU_DEP_1) | instskip(SKIP_2) | instid1(VALU_DEP_2)
	v_lshlrev_b64 v[0:1], 2, v[1:2]
	v_mov_b32_e32 v2, s3
	s_waitcnt lgkmcnt(0)
	v_add_co_u32 v0, vcc_lo, s0, v0
	s_delay_alu instid0(VALU_DEP_3)
	v_add_co_ci_u32_e32 v1, vcc_lo, s1, v1, vcc_lo
	global_store_b32 v[0:1], v2, off
.LBB4_2:
	s_nop 0
	s_sendmsg sendmsg(MSG_DEALLOC_VGPRS)
	s_endpgm
	.section	.rodata,"a",@progbits
	.p2align	6, 0x0
	.amdhsa_kernel _Z12kernel_resetIfEvPT_iS0_
		.amdhsa_group_segment_fixed_size 0
		.amdhsa_private_segment_fixed_size 0
		.amdhsa_kernarg_size 272
		.amdhsa_user_sgpr_count 15
		.amdhsa_user_sgpr_dispatch_ptr 0
		.amdhsa_user_sgpr_queue_ptr 0
		.amdhsa_user_sgpr_kernarg_segment_ptr 1
		.amdhsa_user_sgpr_dispatch_id 0
		.amdhsa_user_sgpr_private_segment_size 0
		.amdhsa_wavefront_size32 1
		.amdhsa_uses_dynamic_stack 0
		.amdhsa_enable_private_segment 0
		.amdhsa_system_sgpr_workgroup_id_x 1
		.amdhsa_system_sgpr_workgroup_id_y 0
		.amdhsa_system_sgpr_workgroup_id_z 0
		.amdhsa_system_sgpr_workgroup_info 0
		.amdhsa_system_vgpr_workitem_id 0
		.amdhsa_next_free_vgpr 3
		.amdhsa_next_free_sgpr 16
		.amdhsa_reserve_vcc 1
		.amdhsa_float_round_mode_32 0
		.amdhsa_float_round_mode_16_64 0
		.amdhsa_float_denorm_mode_32 3
		.amdhsa_float_denorm_mode_16_64 3
		.amdhsa_dx10_clamp 1
		.amdhsa_ieee_mode 1
		.amdhsa_fp16_overflow 0
		.amdhsa_workgroup_processor_mode 1
		.amdhsa_memory_ordered 1
		.amdhsa_forward_progress 0
		.amdhsa_shared_vgpr_count 0
		.amdhsa_exception_fp_ieee_invalid_op 0
		.amdhsa_exception_fp_denorm_src 0
		.amdhsa_exception_fp_ieee_div_zero 0
		.amdhsa_exception_fp_ieee_overflow 0
		.amdhsa_exception_fp_ieee_underflow 0
		.amdhsa_exception_fp_ieee_inexact 0
		.amdhsa_exception_int_div_zero 0
	.end_amdhsa_kernel
	.section	.text._Z12kernel_resetIfEvPT_iS0_,"axG",@progbits,_Z12kernel_resetIfEvPT_iS0_,comdat
.Lfunc_end4:
	.size	_Z12kernel_resetIfEvPT_iS0_, .Lfunc_end4-_Z12kernel_resetIfEvPT_iS0_
                                        ; -- End function
	.section	.AMDGPU.csdata,"",@progbits
; Kernel info:
; codeLenInByte = 124
; NumSgprs: 18
; NumVgprs: 3
; ScratchSize: 0
; MemoryBound: 0
; FloatMode: 240
; IeeeMode: 1
; LDSByteSize: 0 bytes/workgroup (compile time only)
; SGPRBlocks: 2
; VGPRBlocks: 0
; NumSGPRsForWavesPerEU: 18
; NumVGPRsForWavesPerEU: 3
; Occupancy: 16
; WaveLimiterHint : 0
; COMPUTE_PGM_RSRC2:SCRATCH_EN: 0
; COMPUTE_PGM_RSRC2:USER_SGPR: 15
; COMPUTE_PGM_RSRC2:TRAP_HANDLER: 0
; COMPUTE_PGM_RSRC2:TGID_X_EN: 1
; COMPUTE_PGM_RSRC2:TGID_Y_EN: 0
; COMPUTE_PGM_RSRC2:TGID_Z_EN: 0
; COMPUTE_PGM_RSRC2:TIDIG_COMP_CNT: 0
	.section	.text._Z16kernel_redenergyIfEvPKiiPT_S1_f,"axG",@progbits,_Z16kernel_redenergyIfEvPKiiPT_S1_f,comdat
	.protected	_Z16kernel_redenergyIfEvPKiiPT_S1_f ; -- Begin function _Z16kernel_redenergyIfEvPKiiPT_S1_f
	.globl	_Z16kernel_redenergyIfEvPKiiPT_S1_f
	.p2align	8
	.type	_Z16kernel_redenergyIfEvPKiiPT_S1_f,@function
_Z16kernel_redenergyIfEvPKiiPT_S1_f:    ; @_Z16kernel_redenergyIfEvPKiiPT_S1_f
; %bb.0:
	s_clause 0x1
	s_load_b64 s[4:5], s[0:1], 0x34
	s_load_b32 s6, s[0:1], 0x8
	v_bfe_u32 v4, v0, 10, 10
	v_bfe_u32 v6, v0, 20, 10
	s_load_b64 s[10:11], s[0:1], 0x0
	s_waitcnt lgkmcnt(0)
	s_lshr_b32 s3, s4, 16
	s_and_b32 s2, s5, 0xffff
	v_mad_u64_u32 v[1:2], null, s14, s3, v[4:5]
	v_mad_u64_u32 v[2:3], null, s15, s2, v[6:7]
	s_and_b32 s8, s4, 0xffff
	v_lshlrev_b32_e32 v4, 4, v4
	v_lshlrev_b32_e32 v6, 7, v6
	s_delay_alu instid0(VALU_DEP_3) | instskip(SKIP_2) | instid1(VALU_DEP_1)
	v_mul_lo_u32 v5, v2, s6
	v_add_nc_u32_e32 v2, 1, v2
	v_add_nc_u32_e32 v3, 1, v1
	v_cmp_gt_i32_e32 vcc_lo, s6, v3
	v_dual_cndmask_b32 v3, 0, v3 :: v_dual_and_b32 v0, 0x3ff, v0
	s_delay_alu instid0(VALU_DEP_1) | instskip(SKIP_2) | instid1(VALU_DEP_3)
	v_mad_u64_u32 v[7:8], null, s13, s8, v[0:1]
	v_cmp_gt_i32_e32 vcc_lo, s6, v2
	v_cndmask_b32_e32 v8, 0, v2, vcc_lo
	v_add_nc_u32_e32 v10, 1, v7
	s_delay_alu instid0(VALU_DEP_1) | instskip(SKIP_4) | instid1(VALU_DEP_4)
	v_cmp_gt_i32_e32 vcc_lo, s6, v10
	v_add_nc_u32_e32 v9, v5, v1
	v_add_nc_u32_e32 v5, v3, v5
	v_mad_u64_u32 v[2:3], null, v8, s6, v[1:2]
	v_cndmask_b32_e32 v12, 0, v10, vcc_lo
	v_mul_lo_u32 v3, v9, s6
	s_delay_alu instid0(VALU_DEP_4) | instskip(NEXT) | instid1(VALU_DEP_2)
	v_mad_u64_u32 v[8:9], null, v5, s6, v[7:8]
	v_add_nc_u32_e32 v12, v3, v12
	s_delay_alu instid0(VALU_DEP_2) | instskip(SKIP_2) | instid1(VALU_DEP_3)
	v_mad_u64_u32 v[10:11], null, v2, s6, v[7:8]
	v_ashrrev_i32_e32 v9, 31, v8
	s_load_b128 s[4:7], s[0:1], 0x10
	v_ashrrev_i32_e32 v13, 31, v12
	v_add_nc_u32_e32 v1, v3, v7
	s_load_b32 s0, s[0:1], 0x20
	v_lshlrev_b64 v[7:8], 2, v[8:9]
	v_ashrrev_i32_e32 v11, 31, v10
	v_lshlrev_b64 v[12:13], 2, v[12:13]
	v_ashrrev_i32_e32 v2, 31, v1
	s_delay_alu instid0(VALU_DEP_3) | instskip(SKIP_2) | instid1(VALU_DEP_4)
	v_lshlrev_b64 v[9:10], 2, v[10:11]
	v_add_co_u32 v7, vcc_lo, s10, v7
	v_add_co_ci_u32_e32 v8, vcc_lo, s11, v8, vcc_lo
	v_lshlrev_b64 v[1:2], 2, v[1:2]
	v_add_co_u32 v11, vcc_lo, s10, v12
	v_add_co_ci_u32_e32 v12, vcc_lo, s11, v13, vcc_lo
	v_add_co_u32 v9, vcc_lo, s10, v9
	v_add_co_ci_u32_e32 v10, vcc_lo, s11, v10, vcc_lo
	s_waitcnt lgkmcnt(0)
	v_add_co_u32 v13, vcc_lo, s6, v1
	v_add_co_ci_u32_e32 v14, vcc_lo, s7, v2, vcc_lo
	s_clause 0x2
	global_load_b32 v3, v[11:12], off
	global_load_b32 v5, v[7:8], off
	;; [unrolled: 1-line block ×3, first 2 shown]
	v_add_co_u32 v1, vcc_lo, s10, v1
	v_add_co_ci_u32_e32 v2, vcc_lo, s11, v2, vcc_lo
	global_load_b32 v8, v[13:14], off
	global_load_b32 v1, v[1:2], off
	v_mbcnt_lo_u32_b32 v9, -1, 0
	s_delay_alu instid0(VALU_DEP_1) | instskip(SKIP_4) | instid1(VALU_DEP_3)
	v_cmp_gt_u32_e32 vcc_lo, 16, v9
	s_waitcnt vmcnt(2)
	v_add3_u32 v2, v5, v3, v7
	v_cndmask_b32_e64 v3, 0, 1, vcc_lo
	v_cmp_gt_u32_e32 vcc_lo, 24, v9
	v_cvt_f32_i32_e32 v7, v2
	s_waitcnt vmcnt(1)
	v_cvt_f32_i32_e32 v5, v8
	v_lshlrev_b32_e32 v2, 4, v3
	s_waitcnt vmcnt(0)
	v_cvt_f32_i32_e32 v3, v1
	s_delay_alu instid0(VALU_DEP_3) | instskip(NEXT) | instid1(VALU_DEP_3)
	v_fmac_f32_e32 v7, s0, v5
	v_add_lshl_u32 v1, v2, v9, 2
	s_mov_b32 s0, exec_lo
	s_delay_alu instid0(VALU_DEP_2) | instskip(SKIP_3) | instid1(VALU_DEP_2)
	v_mul_f32_e64 v2, v3, -v7
	ds_bpermute_b32 v5, v1, v2
	v_cndmask_b32_e64 v2, 0, 1, vcc_lo
	v_cmp_gt_u32_e32 vcc_lo, 28, v9
	v_lshlrev_b32_e32 v2, 3, v2
	s_delay_alu instid0(VALU_DEP_1)
	v_add_lshl_u32 v2, v2, v9, 2
	s_waitcnt lgkmcnt(0)
	v_fma_f32 v5, v3, -v7, v5
	v_cndmask_b32_e64 v3, 0, 1, vcc_lo
	v_cmp_gt_u32_e32 vcc_lo, 30, v9
	ds_bpermute_b32 v7, v2, v5
	v_lshlrev_b32_e32 v3, 2, v3
	s_delay_alu instid0(VALU_DEP_1)
	v_add_lshl_u32 v3, v3, v9, 2
	s_waitcnt lgkmcnt(0)
	v_add_f32_e32 v7, v5, v7
	v_cndmask_b32_e64 v5, 0, 1, vcc_lo
	v_cmp_ne_u32_e32 vcc_lo, 31, v9
	ds_bpermute_b32 v8, v3, v7
	v_lshlrev_b32_e32 v5, 1, v5
	s_delay_alu instid0(VALU_DEP_1)
	v_add_lshl_u32 v5, v5, v9, 2
	v_add_co_ci_u32_e32 v9, vcc_lo, 0, v9, vcc_lo
	s_waitcnt lgkmcnt(0)
	v_add_f32_e32 v7, v7, v8
	ds_bpermute_b32 v8, v5, v7
	s_waitcnt lgkmcnt(0)
	v_dual_add_f32 v8, v7, v8 :: v_dual_lshlrev_b32 v7, 2, v9
	v_add_nc_u32_e32 v9, v4, v0
	ds_bpermute_b32 v11, v7, v8
	v_and_b32_e32 v10, 31, v9
	v_add_nc_u32_e32 v9, v9, v6
	s_delay_alu instid0(VALU_DEP_2)
	v_cmpx_eq_u32_e32 0, v10
	s_cbranch_execz .LBB5_2
; %bb.1:
	s_waitcnt lgkmcnt(0)
	v_add_f32_e32 v8, v8, v11
	v_lshrrev_b32_e32 v11, 3, v9
	ds_store_b32 v11, v8
.LBB5_2:
	s_or_b32 exec_lo, exec_lo, s0
	s_mul_i32 s0, s3, s8
	v_mov_b32_e32 v8, 0
	s_mul_i32 s0, s0, s2
	s_waitcnt lgkmcnt(0)
	s_lshr_b32 s0, s0, 5
	s_barrier
	v_cmp_gt_u32_e32 vcc_lo, s0, v9
	buffer_gl0_inv
	s_and_saveexec_b32 s0, vcc_lo
	s_cbranch_execz .LBB5_4
; %bb.3:
	v_lshlrev_b32_e32 v8, 2, v10
	ds_load_b32 v8, v8
.LBB5_4:
	s_or_b32 exec_lo, exec_lo, s0
	s_delay_alu instid0(SALU_CYCLE_1)
	s_mov_b32 s0, exec_lo
	v_cmpx_gt_u32_e32 32, v9
	s_cbranch_execz .LBB5_6
; %bb.5:
	s_waitcnt lgkmcnt(0)
	ds_bpermute_b32 v1, v1, v8
	s_waitcnt lgkmcnt(0)
	v_add_f32_e32 v1, v8, v1
	ds_bpermute_b32 v2, v2, v1
	s_waitcnt lgkmcnt(0)
	v_add_f32_e32 v1, v1, v2
	;; [unrolled: 3-line block ×5, first 2 shown]
.LBB5_6:
	s_or_b32 exec_lo, exec_lo, s0
	v_add_nc_u32_e32 v1, v6, v4
	s_mov_b32 s0, exec_lo
	s_delay_alu instid0(VALU_DEP_1) | instskip(NEXT) | instid1(VALU_DEP_1)
	v_or_b32_e32 v0, v1, v0
	v_cmpx_eq_u32_e32 0, v0
	s_cbranch_execz .LBB5_12
; %bb.7:
	v_bfrev_b32_e32 v2, 1
	s_mov_b32 s0, exec_lo
.LBB5_8:                                ; =>This Inner Loop Header: Depth=1
	s_delay_alu instid0(SALU_CYCLE_1) | instskip(SKIP_3) | instid1(SALU_CYCLE_1)
	s_ctz_i32_b32 s1, s0
	s_waitcnt lgkmcnt(0)
	v_readlane_b32 s2, v8, s1
	s_lshl_b32 s1, 1, s1
	s_and_not1_b32 s0, s0, s1
	s_delay_alu instid0(SALU_CYCLE_1) | instskip(NEXT) | instid1(VALU_DEP_1)
	s_cmp_lg_u32 s0, 0
	v_add_f32_e32 v2, s2, v2
	s_cbranch_scc1 .LBB5_8
; %bb.9:
	v_mbcnt_lo_u32_b32 v0, exec_lo, 0
	s_mov_b32 s0, 0
	s_mov_b32 s1, exec_lo
	s_delay_alu instid0(VALU_DEP_1)
	v_cmpx_eq_u32_e32 0, v0
	s_xor_b32 s1, exec_lo, s1
	s_cbranch_execz .LBB5_12
; %bb.10:
	s_load_b32 s1, s[4:5], 0x0
	v_mov_b32_e32 v3, 0
	s_waitcnt lgkmcnt(0)
	v_mov_b32_e32 v1, s1
.LBB5_11:                               ; =>This Inner Loop Header: Depth=1
	s_delay_alu instid0(VALU_DEP_1)
	v_add_f32_e32 v0, v1, v2
	global_atomic_cmpswap_b32 v0, v3, v[0:1], s[4:5] glc
	s_waitcnt vmcnt(0)
	v_cmp_eq_u32_e32 vcc_lo, v0, v1
	v_mov_b32_e32 v1, v0
	s_or_b32 s0, vcc_lo, s0
	s_delay_alu instid0(SALU_CYCLE_1)
	s_and_not1_b32 exec_lo, exec_lo, s0
	s_cbranch_execnz .LBB5_11
.LBB5_12:
	s_endpgm
	.section	.rodata,"a",@progbits
	.p2align	6, 0x0
	.amdhsa_kernel _Z16kernel_redenergyIfEvPKiiPT_S1_f
		.amdhsa_group_segment_fixed_size 128
		.amdhsa_private_segment_fixed_size 0
		.amdhsa_kernarg_size 296
		.amdhsa_user_sgpr_count 13
		.amdhsa_user_sgpr_dispatch_ptr 0
		.amdhsa_user_sgpr_queue_ptr 0
		.amdhsa_user_sgpr_kernarg_segment_ptr 1
		.amdhsa_user_sgpr_dispatch_id 0
		.amdhsa_user_sgpr_private_segment_size 0
		.amdhsa_wavefront_size32 1
		.amdhsa_uses_dynamic_stack 0
		.amdhsa_enable_private_segment 0
		.amdhsa_system_sgpr_workgroup_id_x 1
		.amdhsa_system_sgpr_workgroup_id_y 1
		.amdhsa_system_sgpr_workgroup_id_z 1
		.amdhsa_system_sgpr_workgroup_info 0
		.amdhsa_system_vgpr_workitem_id 2
		.amdhsa_next_free_vgpr 15
		.amdhsa_next_free_sgpr 16
		.amdhsa_reserve_vcc 1
		.amdhsa_float_round_mode_32 0
		.amdhsa_float_round_mode_16_64 0
		.amdhsa_float_denorm_mode_32 3
		.amdhsa_float_denorm_mode_16_64 3
		.amdhsa_dx10_clamp 1
		.amdhsa_ieee_mode 1
		.amdhsa_fp16_overflow 0
		.amdhsa_workgroup_processor_mode 1
		.amdhsa_memory_ordered 1
		.amdhsa_forward_progress 0
		.amdhsa_shared_vgpr_count 0
		.amdhsa_exception_fp_ieee_invalid_op 0
		.amdhsa_exception_fp_denorm_src 0
		.amdhsa_exception_fp_ieee_div_zero 0
		.amdhsa_exception_fp_ieee_overflow 0
		.amdhsa_exception_fp_ieee_underflow 0
		.amdhsa_exception_fp_ieee_inexact 0
		.amdhsa_exception_int_div_zero 0
	.end_amdhsa_kernel
	.section	.text._Z16kernel_redenergyIfEvPKiiPT_S1_f,"axG",@progbits,_Z16kernel_redenergyIfEvPKiiPT_S1_f,comdat
.Lfunc_end5:
	.size	_Z16kernel_redenergyIfEvPKiiPT_S1_f, .Lfunc_end5-_Z16kernel_redenergyIfEvPKiiPT_S1_f
                                        ; -- End function
	.section	.AMDGPU.csdata,"",@progbits
; Kernel info:
; codeLenInByte = 1048
; NumSgprs: 18
; NumVgprs: 15
; ScratchSize: 0
; MemoryBound: 0
; FloatMode: 240
; IeeeMode: 1
; LDSByteSize: 128 bytes/workgroup (compile time only)
; SGPRBlocks: 2
; VGPRBlocks: 1
; NumSGPRsForWavesPerEU: 18
; NumVGPRsForWavesPerEU: 15
; Occupancy: 16
; WaveLimiterHint : 0
; COMPUTE_PGM_RSRC2:SCRATCH_EN: 0
; COMPUTE_PGM_RSRC2:USER_SGPR: 13
; COMPUTE_PGM_RSRC2:TRAP_HANDLER: 0
; COMPUTE_PGM_RSRC2:TGID_X_EN: 1
; COMPUTE_PGM_RSRC2:TGID_Y_EN: 1
; COMPUTE_PGM_RSRC2:TGID_Z_EN: 1
; COMPUTE_PGM_RSRC2:TIDIG_COMP_CNT: 2
	.text
	.p2alignl 7, 3214868480
	.fill 96, 4, 3214868480
	.type	__hip_cuid_c6125100cd04a3c7,@object ; @__hip_cuid_c6125100cd04a3c7
	.section	.bss,"aw",@nobits
	.globl	__hip_cuid_c6125100cd04a3c7
__hip_cuid_c6125100cd04a3c7:
	.byte	0                               ; 0x0
	.size	__hip_cuid_c6125100cd04a3c7, 1

	.ident	"AMD clang version 19.0.0git (https://github.com/RadeonOpenCompute/llvm-project roc-6.4.0 25133 c7fe45cf4b819c5991fe208aaa96edf142730f1d)"
	.section	".note.GNU-stack","",@progbits
	.addrsig
	.addrsig_sym __hip_cuid_c6125100cd04a3c7
	.amdgpu_metadata
---
amdhsa.kernels:
  - .args:
      - .address_space:  global
        .offset:         0
        .size:           8
        .value_kind:     global_buffer
      - .address_space:  global
        .offset:         8
        .size:           8
        .value_kind:     global_buffer
      - .offset:         16
        .size:           4
        .value_kind:     by_value
      - .offset:         24
        .size:           8
        .value_kind:     by_value
      - .offset:         32
        .size:           8
        .value_kind:     by_value
      - .offset:         40
        .size:           4
        .value_kind:     hidden_block_count_x
      - .offset:         44
        .size:           4
        .value_kind:     hidden_block_count_y
      - .offset:         48
        .size:           4
        .value_kind:     hidden_block_count_z
      - .offset:         52
        .size:           2
        .value_kind:     hidden_group_size_x
      - .offset:         54
        .size:           2
        .value_kind:     hidden_group_size_y
      - .offset:         56
        .size:           2
        .value_kind:     hidden_group_size_z
      - .offset:         58
        .size:           2
        .value_kind:     hidden_remainder_x
      - .offset:         60
        .size:           2
        .value_kind:     hidden_remainder_y
      - .offset:         62
        .size:           2
        .value_kind:     hidden_remainder_z
      - .offset:         80
        .size:           8
        .value_kind:     hidden_global_offset_x
      - .offset:         88
        .size:           8
        .value_kind:     hidden_global_offset_y
      - .offset:         96
        .size:           8
        .value_kind:     hidden_global_offset_z
      - .offset:         104
        .size:           2
        .value_kind:     hidden_grid_dims
    .group_segment_fixed_size: 0
    .kernarg_segment_align: 8
    .kernarg_segment_size: 296
    .language:       OpenCL C
    .language_version:
      - 2
      - 0
    .max_flat_workgroup_size: 1024
    .name:           _Z19kernel_gpupcg_setupPmS_imm
    .private_segment_fixed_size: 0
    .sgpr_count:     18
    .sgpr_spill_count: 0
    .symbol:         _Z19kernel_gpupcg_setupPmS_imm.kd
    .uniform_work_group_size: 1
    .uses_dynamic_stack: false
    .vgpr_count:     11
    .vgpr_spill_count: 0
    .wavefront_size: 32
    .workgroup_processor_mode: 1
  - .args:
      - .offset:         0
        .size:           4
        .value_kind:     by_value
      - .offset:         4
        .size:           4
        .value_kind:     by_value
      - .address_space:  global
        .offset:         8
        .size:           8
        .value_kind:     global_buffer
      - .address_space:  global
        .offset:         16
        .size:           8
        .value_kind:     global_buffer
      - .offset:         24
        .size:           4
        .value_kind:     by_value
      - .offset:         28
        .size:           4
        .value_kind:     by_value
      - .address_space:  global
        .offset:         32
        .size:           8
        .value_kind:     global_buffer
      - .address_space:  global
        .offset:         40
        .size:           8
        .value_kind:     global_buffer
      - .offset:         48
        .size:           4
        .value_kind:     by_value
      - .offset:         56
        .size:           4
        .value_kind:     hidden_block_count_x
      - .offset:         60
        .size:           4
        .value_kind:     hidden_block_count_y
      - .offset:         64
        .size:           4
        .value_kind:     hidden_block_count_z
      - .offset:         68
        .size:           2
        .value_kind:     hidden_group_size_x
      - .offset:         70
        .size:           2
        .value_kind:     hidden_group_size_y
      - .offset:         72
        .size:           2
        .value_kind:     hidden_group_size_z
      - .offset:         74
        .size:           2
        .value_kind:     hidden_remainder_x
      - .offset:         76
        .size:           2
        .value_kind:     hidden_remainder_y
      - .offset:         78
        .size:           2
        .value_kind:     hidden_remainder_z
      - .offset:         96
        .size:           8
        .value_kind:     hidden_global_offset_x
      - .offset:         104
        .size:           8
        .value_kind:     hidden_global_offset_y
      - .offset:         112
        .size:           8
        .value_kind:     hidden_global_offset_z
      - .offset:         120
        .size:           2
        .value_kind:     hidden_grid_dims
    .group_segment_fixed_size: 4320
    .kernarg_segment_align: 8
    .kernarg_segment_size: 312
    .language:       OpenCL C
    .language_version:
      - 2
      - 0
    .max_flat_workgroup_size: 1024
    .name:           _Z17kernel_metropolisiiPiPKiffPmS2_i
    .private_segment_fixed_size: 0
    .sgpr_count:     18
    .sgpr_spill_count: 0
    .symbol:         _Z17kernel_metropolisiiPiPKiffPmS2_i.kd
    .uniform_work_group_size: 1
    .uses_dynamic_stack: false
    .vgpr_count:     32
    .vgpr_spill_count: 0
    .wavefront_size: 32
    .workgroup_processor_mode: 1
  - .args:
      - .address_space:  global
        .offset:         0
        .size:           8
        .value_kind:     global_buffer
      - .offset:         8
        .size:           4
        .value_kind:     by_value
      - .address_space:  global
        .offset:         16
        .size:           8
        .value_kind:     global_buffer
      - .address_space:  global
        .offset:         24
        .size:           8
        .value_kind:     global_buffer
      - .offset:         32
        .size:           4
        .value_kind:     hidden_block_count_x
      - .offset:         36
        .size:           4
        .value_kind:     hidden_block_count_y
      - .offset:         40
        .size:           4
        .value_kind:     hidden_block_count_z
      - .offset:         44
        .size:           2
        .value_kind:     hidden_group_size_x
      - .offset:         46
        .size:           2
        .value_kind:     hidden_group_size_y
      - .offset:         48
        .size:           2
        .value_kind:     hidden_group_size_z
      - .offset:         50
        .size:           2
        .value_kind:     hidden_remainder_x
      - .offset:         52
        .size:           2
        .value_kind:     hidden_remainder_y
      - .offset:         54
        .size:           2
        .value_kind:     hidden_remainder_z
      - .offset:         72
        .size:           8
        .value_kind:     hidden_global_offset_x
      - .offset:         80
        .size:           8
        .value_kind:     hidden_global_offset_y
      - .offset:         88
        .size:           8
        .value_kind:     hidden_global_offset_z
      - .offset:         96
        .size:           2
        .value_kind:     hidden_grid_dims
    .group_segment_fixed_size: 0
    .kernarg_segment_align: 8
    .kernarg_segment_size: 288
    .language:       OpenCL C
    .language_version:
      - 2
      - 0
    .max_flat_workgroup_size: 1024
    .name:           _Z26kernel_reset_random_gpupcgPiiPmS0_
    .private_segment_fixed_size: 0
    .sgpr_count:     18
    .sgpr_spill_count: 0
    .symbol:         _Z26kernel_reset_random_gpupcgPiiPmS0_.kd
    .uniform_work_group_size: 1
    .uses_dynamic_stack: false
    .vgpr_count:     22
    .vgpr_spill_count: 0
    .wavefront_size: 32
    .workgroup_processor_mode: 1
  - .args:
      - .address_space:  global
        .offset:         0
        .size:           8
        .value_kind:     global_buffer
      - .offset:         8
        .size:           4
        .value_kind:     by_value
      - .offset:         12
        .size:           4
        .value_kind:     by_value
      - .offset:         16
        .size:           4
        .value_kind:     hidden_block_count_x
      - .offset:         20
        .size:           4
        .value_kind:     hidden_block_count_y
      - .offset:         24
        .size:           4
        .value_kind:     hidden_block_count_z
      - .offset:         28
        .size:           2
        .value_kind:     hidden_group_size_x
      - .offset:         30
        .size:           2
        .value_kind:     hidden_group_size_y
      - .offset:         32
        .size:           2
        .value_kind:     hidden_group_size_z
      - .offset:         34
        .size:           2
        .value_kind:     hidden_remainder_x
      - .offset:         36
        .size:           2
        .value_kind:     hidden_remainder_y
      - .offset:         38
        .size:           2
        .value_kind:     hidden_remainder_z
      - .offset:         56
        .size:           8
        .value_kind:     hidden_global_offset_x
      - .offset:         64
        .size:           8
        .value_kind:     hidden_global_offset_y
      - .offset:         72
        .size:           8
        .value_kind:     hidden_global_offset_z
      - .offset:         80
        .size:           2
        .value_kind:     hidden_grid_dims
    .group_segment_fixed_size: 0
    .kernarg_segment_align: 8
    .kernarg_segment_size: 272
    .language:       OpenCL C
    .language_version:
      - 2
      - 0
    .max_flat_workgroup_size: 1024
    .name:           _Z12kernel_resetIiEvPT_iS0_
    .private_segment_fixed_size: 0
    .sgpr_count:     18
    .sgpr_spill_count: 0
    .symbol:         _Z12kernel_resetIiEvPT_iS0_.kd
    .uniform_work_group_size: 1
    .uses_dynamic_stack: false
    .vgpr_count:     3
    .vgpr_spill_count: 0
    .wavefront_size: 32
    .workgroup_processor_mode: 1
  - .args:
      - .address_space:  global
        .offset:         0
        .size:           8
        .value_kind:     global_buffer
      - .offset:         8
        .size:           4
        .value_kind:     by_value
      - .offset:         12
        .size:           4
        .value_kind:     by_value
      - .offset:         16
        .size:           4
        .value_kind:     hidden_block_count_x
      - .offset:         20
        .size:           4
        .value_kind:     hidden_block_count_y
      - .offset:         24
        .size:           4
        .value_kind:     hidden_block_count_z
      - .offset:         28
        .size:           2
        .value_kind:     hidden_group_size_x
      - .offset:         30
        .size:           2
        .value_kind:     hidden_group_size_y
      - .offset:         32
        .size:           2
        .value_kind:     hidden_group_size_z
      - .offset:         34
        .size:           2
        .value_kind:     hidden_remainder_x
      - .offset:         36
        .size:           2
        .value_kind:     hidden_remainder_y
      - .offset:         38
        .size:           2
        .value_kind:     hidden_remainder_z
      - .offset:         56
        .size:           8
        .value_kind:     hidden_global_offset_x
      - .offset:         64
        .size:           8
        .value_kind:     hidden_global_offset_y
      - .offset:         72
        .size:           8
        .value_kind:     hidden_global_offset_z
      - .offset:         80
        .size:           2
        .value_kind:     hidden_grid_dims
    .group_segment_fixed_size: 0
    .kernarg_segment_align: 8
    .kernarg_segment_size: 272
    .language:       OpenCL C
    .language_version:
      - 2
      - 0
    .max_flat_workgroup_size: 1024
    .name:           _Z12kernel_resetIfEvPT_iS0_
    .private_segment_fixed_size: 0
    .sgpr_count:     18
    .sgpr_spill_count: 0
    .symbol:         _Z12kernel_resetIfEvPT_iS0_.kd
    .uniform_work_group_size: 1
    .uses_dynamic_stack: false
    .vgpr_count:     3
    .vgpr_spill_count: 0
    .wavefront_size: 32
    .workgroup_processor_mode: 1
  - .args:
      - .address_space:  global
        .offset:         0
        .size:           8
        .value_kind:     global_buffer
      - .offset:         8
        .size:           4
        .value_kind:     by_value
      - .address_space:  global
        .offset:         16
        .size:           8
        .value_kind:     global_buffer
      - .address_space:  global
        .offset:         24
        .size:           8
        .value_kind:     global_buffer
      - .offset:         32
        .size:           4
        .value_kind:     by_value
      - .offset:         40
        .size:           4
        .value_kind:     hidden_block_count_x
      - .offset:         44
        .size:           4
        .value_kind:     hidden_block_count_y
      - .offset:         48
        .size:           4
        .value_kind:     hidden_block_count_z
      - .offset:         52
        .size:           2
        .value_kind:     hidden_group_size_x
      - .offset:         54
        .size:           2
        .value_kind:     hidden_group_size_y
      - .offset:         56
        .size:           2
        .value_kind:     hidden_group_size_z
      - .offset:         58
        .size:           2
        .value_kind:     hidden_remainder_x
      - .offset:         60
        .size:           2
        .value_kind:     hidden_remainder_y
      - .offset:         62
        .size:           2
        .value_kind:     hidden_remainder_z
      - .offset:         80
        .size:           8
        .value_kind:     hidden_global_offset_x
      - .offset:         88
        .size:           8
        .value_kind:     hidden_global_offset_y
      - .offset:         96
        .size:           8
        .value_kind:     hidden_global_offset_z
      - .offset:         104
        .size:           2
        .value_kind:     hidden_grid_dims
    .group_segment_fixed_size: 128
    .kernarg_segment_align: 8
    .kernarg_segment_size: 296
    .language:       OpenCL C
    .language_version:
      - 2
      - 0
    .max_flat_workgroup_size: 1024
    .name:           _Z16kernel_redenergyIfEvPKiiPT_S1_f
    .private_segment_fixed_size: 0
    .sgpr_count:     18
    .sgpr_spill_count: 0
    .symbol:         _Z16kernel_redenergyIfEvPKiiPT_S1_f.kd
    .uniform_work_group_size: 1
    .uses_dynamic_stack: false
    .vgpr_count:     15
    .vgpr_spill_count: 0
    .wavefront_size: 32
    .workgroup_processor_mode: 1
amdhsa.target:   amdgcn-amd-amdhsa--gfx1100
amdhsa.version:
  - 1
  - 2
...

	.end_amdgpu_metadata
